;; amdgpu-corpus repo=ROCm/rocFFT kind=compiled arch=gfx1030 opt=O3
	.text
	.amdgcn_target "amdgcn-amd-amdhsa--gfx1030"
	.amdhsa_code_object_version 6
	.protected	bluestein_single_back_len1100_dim1_dp_op_CI_CI ; -- Begin function bluestein_single_back_len1100_dim1_dp_op_CI_CI
	.globl	bluestein_single_back_len1100_dim1_dp_op_CI_CI
	.p2align	8
	.type	bluestein_single_back_len1100_dim1_dp_op_CI_CI,@function
bluestein_single_back_len1100_dim1_dp_op_CI_CI: ; @bluestein_single_back_len1100_dim1_dp_op_CI_CI
; %bb.0:
	s_load_dwordx4 s[8:11], s[4:5], 0x28
	v_mul_u32_u24_e32 v1, 0x254, v0
	v_mov_b32_e32 v189, 0
	s_mov_b32 s0, exec_lo
	v_lshrrev_b32_e32 v1, 16, v1
	v_add_nc_u32_e32 v188, s6, v1
	s_waitcnt lgkmcnt(0)
	v_cmpx_gt_u64_e64 s[8:9], v[188:189]
	s_cbranch_execz .LBB0_10
; %bb.1:
	s_clause 0x1
	s_load_dwordx4 s[0:3], s[4:5], 0x18
	s_load_dwordx4 s[12:15], s[4:5], 0x0
	v_mul_lo_u16 v1, 0x6e, v1
	v_sub_nc_u16 v44, v0, v1
	v_and_b32_e32 v194, 0xffff, v44
	v_lshlrev_b32_e32 v193, 4, v194
	v_lshlrev_b32_e32 v124, 1, v194
	v_and_b32_e32 v125, 1, v194
	s_waitcnt lgkmcnt(0)
	s_load_dwordx4 s[16:19], s[0:1], 0x0
	s_clause 0x1
	global_load_dwordx4 v[0:3], v193, s[12:13]
	global_load_dwordx4 v[4:7], v193, s[12:13] offset:1760
	v_add_co_u32 v24, s0, s12, v193
	v_add_co_ci_u32_e64 v25, null, s13, 0, s0
	v_lshlrev_b32_e32 v197, 5, v194
	v_add_co_u32 v8, vcc_lo, 0x2000, v24
	v_add_co_ci_u32_e32 v9, vcc_lo, 0, v25, vcc_lo
	v_add_co_u32 v10, vcc_lo, 0x2800, v24
	v_add_co_ci_u32_e32 v11, vcc_lo, 0, v25, vcc_lo
	v_add_co_u32 v12, vcc_lo, 0x800, v24
	v_add_co_ci_u32_e32 v13, vcc_lo, 0, v25, vcc_lo
	s_waitcnt lgkmcnt(0)
	v_mad_u64_u32 v[14:15], null, s18, v188, 0
	v_add_co_u32 v16, vcc_lo, 0x3000, v24
	v_mad_u64_u32 v[18:19], null, s16, v194, 0
	v_add_co_ci_u32_e32 v17, vcc_lo, 0, v25, vcc_lo
	v_add_co_u32 v20, vcc_lo, 0x1000, v24
	v_mad_u64_u32 v[22:23], null, s19, v188, v[15:16]
	v_add_co_ci_u32_e32 v21, vcc_lo, 0, v25, vcc_lo
	v_add_co_u32 v28, vcc_lo, 0x1800, v24
	v_add_co_ci_u32_e32 v29, vcc_lo, 0, v25, vcc_lo
	v_add_co_u32 v32, vcc_lo, 0x3800, v24
	v_mad_u64_u32 v[23:24], null, s17, v194, v[19:20]
	v_mov_b32_e32 v15, v22
	v_add_co_ci_u32_e32 v33, vcc_lo, 0, v25, vcc_lo
	s_clause 0x2
	global_load_dwordx4 v[36:39], v[8:9], off offset:608
	global_load_dwordx4 v[24:27], v[10:11], off offset:320
	;; [unrolled: 1-line block ×3, first 2 shown]
	s_mul_i32 s0, s17, 0x2260
	v_lshlrev_b64 v[12:13], 4, v[14:15]
	v_mov_b32_e32 v19, v23
	s_mul_hi_u32 s1, s16, 0x2260
	s_mul_i32 s6, s16, 0x2260
	s_add_i32 s1, s1, s0
	s_mul_hi_u32 s8, s16, 0xffffe480
	v_lshlrev_b64 v[14:15], 4, v[18:19]
	v_add_co_u32 v12, vcc_lo, s10, v12
	v_add_co_ci_u32_e32 v13, vcc_lo, s11, v13, vcc_lo
	s_mul_i32 s7, s17, 0xffffe480
	v_add_co_u32 v30, vcc_lo, v12, v14
	v_add_co_ci_u32_e32 v31, vcc_lo, v13, v15, vcc_lo
	s_mul_i32 s9, s16, 0xffffe480
	v_add_co_u32 v34, vcc_lo, v30, s6
	v_add_co_ci_u32_e32 v35, vcc_lo, s1, v31, vcc_lo
	s_sub_i32 s0, s8, s16
	v_add_co_u32 v49, vcc_lo, v34, s9
	s_add_i32 s0, s0, s7
	global_load_dwordx4 v[12:15], v[20:21], off offset:1184
	v_add_co_ci_u32_e32 v50, vcc_lo, s0, v35, vcc_lo
	v_add_co_u32 v53, vcc_lo, v49, s6
	s_clause 0x1
	global_load_dwordx4 v[20:23], v[16:17], off offset:32
	global_load_dwordx4 v[16:19], v[16:17], off offset:1792
	v_add_co_ci_u32_e32 v54, vcc_lo, s1, v50, vcc_lo
	v_add_co_u32 v57, vcc_lo, v53, s9
	s_clause 0x1
	global_load_dwordx4 v[40:43], v[30:31], off
	global_load_dwordx4 v[45:48], v[34:35], off
	v_add_co_ci_u32_e32 v58, vcc_lo, s0, v54, vcc_lo
	v_add_co_u32 v30, vcc_lo, v57, s6
	s_clause 0x1
	global_load_dwordx4 v[49:52], v[49:50], off
	global_load_dwordx4 v[53:56], v[53:54], off
	v_add_co_ci_u32_e32 v31, vcc_lo, s1, v58, vcc_lo
	v_add_co_u32 v34, vcc_lo, v30, s9
	global_load_dwordx4 v[57:60], v[57:58], off
	v_add_co_ci_u32_e32 v35, vcc_lo, s0, v31, vcc_lo
	v_add_co_u32 v69, vcc_lo, v34, s6
	;; [unrolled: 3-line block ×4, first 2 shown]
	v_add_co_u32 v207, s0, 0x6e, v194
	v_add_co_ci_u32_e32 v78, vcc_lo, s1, v74, vcc_lo
	global_load_dwordx4 v[69:72], v[69:70], off
	global_load_dwordx4 v[28:31], v[28:29], off offset:896
	global_load_dwordx4 v[73:76], v[73:74], off
	global_load_dwordx4 v[32:35], v[32:33], off offset:1504
	global_load_dwordx4 v[77:80], v[77:78], off
	s_load_dwordx4 s[8:11], s[2:3], 0x0
	v_add_nc_u32_e32 v126, 0x1b8, v124
	v_add_nc_u32_e32 v127, 0x294, v124
	;; [unrolled: 1-line block ×3, first 2 shown]
	v_lshlrev_b32_e32 v206, 5, v207
	s_load_dwordx2 s[2:3], s[4:5], 0x38
	v_lshlrev_b32_e32 v205, 4, v126
	v_lshlrev_b32_e32 v204, 4, v127
	;; [unrolled: 1-line block ×3, first 2 shown]
	v_cmp_gt_u16_e32 vcc_lo, 0x64, v44
	v_lshlrev_b32_e32 v44, 1, v207
	v_and_or_b32 v44, 0x1fc, v44, v125
	v_lshlrev_b32_e32 v201, 4, v44
	s_waitcnt vmcnt(11)
	v_mul_f64 v[81:82], v[42:43], v[2:3]
	v_mul_f64 v[83:84], v[40:41], v[2:3]
	s_waitcnt vmcnt(10)
	v_mul_f64 v[85:86], v[47:48], v[38:39]
	v_mul_f64 v[87:88], v[45:46], v[38:39]
	;; [unrolled: 3-line block ×7, first 2 shown]
	v_fma_f64 v[40:41], v[40:41], v[0:1], v[81:82]
	v_fma_f64 v[42:43], v[42:43], v[0:1], -v[83:84]
	v_fma_f64 v[45:46], v[45:46], v[36:37], v[85:86]
	s_waitcnt vmcnt(4)
	v_mul_f64 v[109:110], v[71:72], v[18:19]
	v_mul_f64 v[111:112], v[69:70], v[18:19]
	s_waitcnt vmcnt(2)
	v_mul_f64 v[113:114], v[75:76], v[30:31]
	v_mul_f64 v[115:116], v[73:74], v[30:31]
	;; [unrolled: 3-line block ×3, first 2 shown]
	v_fma_f64 v[47:48], v[47:48], v[36:37], -v[87:88]
	v_fma_f64 v[49:50], v[49:50], v[4:5], v[89:90]
	v_fma_f64 v[51:52], v[51:52], v[4:5], -v[91:92]
	v_fma_f64 v[53:54], v[53:54], v[24:25], v[93:94]
	v_fma_f64 v[55:56], v[55:56], v[24:25], -v[95:96]
	v_fma_f64 v[57:58], v[57:58], v[8:9], v[97:98]
	v_fma_f64 v[59:60], v[59:60], v[8:9], -v[99:100]
	v_fma_f64 v[61:62], v[61:62], v[20:21], v[101:102]
	v_fma_f64 v[63:64], v[63:64], v[20:21], -v[103:104]
	v_lshlrev_b32_e32 v82, 4, v125
	v_add_co_ci_u32_e64 v81, null, 0, 0, s0
	v_fma_f64 v[65:66], v[65:66], v[12:13], v[105:106]
	v_fma_f64 v[67:68], v[67:68], v[12:13], -v[107:108]
	v_lshlrev_b32_e32 v81, 4, v124
	v_fma_f64 v[69:70], v[69:70], v[16:17], v[109:110]
	v_fma_f64 v[71:72], v[71:72], v[16:17], -v[111:112]
	v_fma_f64 v[73:74], v[73:74], v[28:29], v[113:114]
	v_fma_f64 v[75:76], v[75:76], v[28:29], -v[115:116]
	;; [unrolled: 2-line block ×3, first 2 shown]
	ds_write_b128 v193, v[40:43]
	ds_write_b128 v193, v[45:48] offset:8800
	ds_write_b128 v193, v[49:52] offset:1760
	;; [unrolled: 1-line block ×9, first 2 shown]
	s_waitcnt lgkmcnt(0)
	s_barrier
	buffer_gl0_inv
	ds_read_b128 v[40:43], v193 offset:8800
	ds_read_b128 v[45:48], v193
	ds_read_b128 v[49:52], v193 offset:1760
	ds_read_b128 v[53:56], v193 offset:10560
	;; [unrolled: 1-line block ×8, first 2 shown]
	s_waitcnt lgkmcnt(0)
	s_barrier
	buffer_gl0_inv
	v_add_f64 v[40:41], v[45:46], -v[40:41]
	v_add_f64 v[42:43], v[47:48], -v[42:43]
	;; [unrolled: 1-line block ×10, first 2 shown]
	v_fma_f64 v[45:46], v[45:46], 2.0, -v[40:41]
	v_fma_f64 v[47:48], v[47:48], 2.0, -v[42:43]
	;; [unrolled: 1-line block ×10, first 2 shown]
	ds_write_b128 v197, v[40:43] offset:16
	ds_write_b128 v197, v[45:48]
	ds_write_b128 v206, v[49:52]
	ds_write_b128 v206, v[53:56] offset:16
	ds_write_b128 v81, v[61:64] offset:7040
	;; [unrolled: 1-line block ×7, first 2 shown]
	s_waitcnt lgkmcnt(0)
	s_barrier
	buffer_gl0_inv
	global_load_dwordx4 v[40:43], v82, s[14:15]
	ds_read_b128 v[45:48], v193 offset:8800
	ds_read_b128 v[49:52], v193 offset:10560
	;; [unrolled: 1-line block ×6, first 2 shown]
	ds_read_b128 v[69:72], v193
	ds_read_b128 v[73:76], v193 offset:1760
	ds_read_b128 v[77:80], v193 offset:3520
	;; [unrolled: 1-line block ×3, first 2 shown]
	s_waitcnt vmcnt(0) lgkmcnt(0)
	s_barrier
	buffer_gl0_inv
	v_mul_f64 v[81:82], v[47:48], v[42:43]
	v_mul_f64 v[83:84], v[45:46], v[42:43]
	;; [unrolled: 1-line block ×10, first 2 shown]
	v_fma_f64 v[45:46], v[45:46], v[40:41], -v[81:82]
	v_fma_f64 v[47:48], v[47:48], v[40:41], v[83:84]
	v_fma_f64 v[49:50], v[49:50], v[40:41], -v[85:86]
	v_fma_f64 v[51:52], v[51:52], v[40:41], v[87:88]
	;; [unrolled: 2-line block ×5, first 2 shown]
	v_add_f64 v[96:97], v[69:70], -v[45:46]
	v_add_f64 v[98:99], v[71:72], -v[47:48]
	;; [unrolled: 1-line block ×10, first 2 shown]
	v_and_or_b32 v45, 0xfc, v124, v125
	v_and_or_b32 v46, 0x3fc, v126, v125
	;; [unrolled: 1-line block ×4, first 2 shown]
                                        ; implicit-def: $vgpr124_vgpr125
	v_lshlrev_b32_e32 v202, 4, v45
	v_lshlrev_b32_e32 v200, 4, v46
	;; [unrolled: 1-line block ×4, first 2 shown]
	v_fma_f64 v[84:85], v[69:70], 2.0, -v[96:97]
	v_fma_f64 v[86:87], v[71:72], 2.0, -v[98:99]
	;; [unrolled: 1-line block ×10, first 2 shown]
	ds_write_b128 v202, v[96:99] offset:32
	ds_write_b128 v202, v[84:87]
	ds_write_b128 v201, v[116:119]
	ds_write_b128 v201, v[92:95] offset:32
	ds_write_b128 v200, v[108:111]
	ds_write_b128 v200, v[88:91] offset:32
	;; [unrolled: 2-line block ×4, first 2 shown]
	s_waitcnt lgkmcnt(0)
	s_barrier
	buffer_gl0_inv
	s_and_saveexec_b32 s0, vcc_lo
	s_cbranch_execz .LBB0_3
; %bb.2:
	ds_read_b128 v[84:87], v193
	ds_read_b128 v[96:99], v193 offset:1600
	ds_read_b128 v[116:119], v193 offset:3200
	;; [unrolled: 1-line block ×10, first 2 shown]
.LBB0_3:
	s_or_b32 exec_lo, exec_lo, s0
	v_and_b32_e32 v195, 3, v194
	s_mov_b32 s0, 0xf8bb580b
	s_mov_b32 s1, 0xbfe14ced
	;; [unrolled: 1-line block ×4, first 2 shown]
	v_mad_u64_u32 v[76:77], null, 0xa0, v195, s[14:15]
	s_mov_b32 s5, 0x3feaeb8c
	s_mov_b32 s7, 0xbfed1bb4
	;; [unrolled: 1-line block ×6, first 2 shown]
	s_clause 0x9
	global_load_dwordx4 v[44:47], v[76:77], off offset:32
	global_load_dwordx4 v[72:75], v[76:77], off offset:176
	;; [unrolled: 1-line block ×10, first 2 shown]
	s_mov_b32 s20, 0x640f44db
	s_mov_b32 s28, 0xbb3a28a1
	;; [unrolled: 1-line block ×10, first 2 shown]
	v_lshrrev_b32_e32 v196, 2, v194
	s_waitcnt vmcnt(0) lgkmcnt(0)
	s_barrier
	buffer_gl0_inv
	v_mul_f64 v[128:129], v[96:97], v[46:47]
	v_mul_f64 v[130:131], v[124:125], v[74:75]
	;; [unrolled: 1-line block ×12, first 2 shown]
	v_fma_f64 v[168:169], v[98:99], v[44:45], v[128:129]
	v_fma_f64 v[98:99], v[126:127], v[72:73], v[130:131]
	v_fma_f64 v[170:171], v[96:97], v[44:45], -v[132:133]
	v_fma_f64 v[96:97], v[124:125], v[72:73], -v[134:135]
	v_mul_f64 v[124:125], v[94:95], v[62:63]
	v_mul_f64 v[128:129], v[92:93], v[62:63]
	v_mul_f64 v[130:131], v[122:123], v[58:59]
	v_mul_f64 v[132:133], v[120:121], v[58:59]
	v_fma_f64 v[116:117], v[116:117], v[48:49], -v[136:137]
	v_fma_f64 v[118:119], v[118:119], v[48:49], v[138:139]
	v_fma_f64 v[114:115], v[114:115], v[52:53], v[142:143]
	v_fma_f64 v[112:113], v[112:113], v[52:53], -v[140:141]
	v_mul_f64 v[134:135], v[108:109], v[70:71]
	v_mul_f64 v[138:139], v[100:101], v[66:67]
	;; [unrolled: 1-line block ×4, first 2 shown]
	v_fma_f64 v[146:147], v[88:89], v[80:81], -v[144:145]
	v_fma_f64 v[150:151], v[90:91], v[80:81], v[148:149]
	v_fma_f64 v[148:149], v[104:105], v[76:77], -v[152:153]
	v_fma_f64 v[152:153], v[106:107], v[76:77], v[154:155]
	v_add_f64 v[174:175], v[168:169], -v[98:99]
	v_add_f64 v[186:187], v[168:169], v[98:99]
	v_add_f64 v[180:181], v[170:171], -v[96:97]
	v_fma_f64 v[126:127], v[92:93], v[60:61], -v[124:125]
	v_fma_f64 v[128:129], v[94:95], v[60:61], v[128:129]
	v_fma_f64 v[124:125], v[120:121], v[56:57], -v[130:131]
	v_fma_f64 v[122:123], v[122:123], v[56:57], v[132:133]
	v_add_f64 v[184:185], v[170:171], v[96:97]
	v_add_f64 v[120:121], v[118:119], -v[114:115]
	v_add_f64 v[92:93], v[116:117], -v[112:113]
	v_fma_f64 v[136:137], v[110:111], v[68:69], v[134:135]
	v_fma_f64 v[132:133], v[102:103], v[64:65], v[138:139]
	v_fma_f64 v[138:139], v[108:109], v[68:69], -v[140:141]
	v_fma_f64 v[134:135], v[100:101], v[64:65], -v[142:143]
	v_add_f64 v[94:95], v[116:117], v[112:113]
	v_add_f64 v[130:131], v[118:119], v[114:115]
	v_add_f64 v[106:107], v[146:147], -v[148:149]
	v_add_f64 v[156:157], v[150:151], -v[152:153]
	v_mul_f64 v[189:190], v[174:175], s[0:1]
	v_mul_f64 v[191:192], v[180:181], s[0:1]
	v_add_f64 v[108:109], v[126:127], -v[124:125]
	v_add_f64 v[110:111], v[128:129], -v[122:123]
	v_add_f64 v[88:89], v[126:127], v[124:125]
	v_add_f64 v[144:145], v[128:129], v[122:123]
	v_mul_f64 v[158:159], v[120:121], s[6:7]
	v_mul_f64 v[160:161], v[92:93], s[6:7]
	v_add_f64 v[142:143], v[136:137], -v[132:133]
	v_add_f64 v[154:155], v[136:137], v[132:133]
	v_add_f64 v[90:91], v[138:139], -v[134:135]
	v_add_f64 v[104:105], v[138:139], v[134:135]
	v_mul_f64 v[182:183], v[106:107], s[24:25]
	v_mul_f64 v[178:179], v[156:157], s[24:25]
	v_fma_f64 v[100:101], v[184:185], s[4:5], v[189:190]
	v_fma_f64 v[102:103], v[186:187], s[4:5], -v[191:192]
	v_mul_f64 v[166:167], v[108:109], s[18:19]
	v_mul_f64 v[164:165], v[110:111], s[18:19]
	v_fma_f64 v[140:141], v[94:95], s[16:17], v[158:159]
	v_fma_f64 v[162:163], v[130:131], s[16:17], -v[160:161]
	v_mul_f64 v[172:173], v[142:143], s[28:29]
	v_mul_f64 v[176:177], v[90:91], s[28:29]
	v_add_f64 v[100:101], v[84:85], v[100:101]
	v_add_f64 v[102:103], v[86:87], v[102:103]
	v_fma_f64 v[210:211], v[144:145], s[20:21], -v[166:167]
	v_fma_f64 v[208:209], v[88:89], s[20:21], v[164:165]
	v_fma_f64 v[212:213], v[104:105], s[22:23], v[172:173]
	v_fma_f64 v[214:215], v[154:155], s[22:23], -v[176:177]
	v_add_f64 v[100:101], v[140:141], v[100:101]
	v_add_f64 v[140:141], v[146:147], v[148:149]
	;; [unrolled: 1-line block ×5, first 2 shown]
	v_fma_f64 v[208:209], v[140:141], s[26:27], v[178:179]
	v_add_f64 v[102:103], v[210:211], v[102:103]
	v_fma_f64 v[210:211], v[162:163], s[26:27], -v[182:183]
	v_add_f64 v[100:101], v[212:213], v[100:101]
	v_add_f64 v[102:103], v[214:215], v[102:103]
	v_add_f64 v[100:101], v[208:209], v[100:101]
	v_add_f64 v[102:103], v[210:211], v[102:103]
	s_and_saveexec_b32 s33, vcc_lo
	s_cbranch_execz .LBB0_5
; %bb.4:
	v_mul_f64 v[208:209], v[186:187], s[4:5]
	v_mul_f64 v[210:211], v[186:187], s[22:23]
	;; [unrolled: 1-line block ×4, first 2 shown]
	s_mov_b32 s39, 0x3fd207e7
	s_mov_b32 s38, s24
	;; [unrolled: 1-line block ×8, first 2 shown]
	v_mul_f64 v[224:225], v[174:175], s[18:19]
	v_add_f64 v[234:235], v[86:87], v[168:169]
	v_add_f64 v[236:237], v[84:85], v[170:171]
	s_mov_b32 s41, 0x3fe14ced
	s_mov_b32 s40, s0
	v_mul_f64 v[242:243], v[162:163], s[20:21]
	v_mul_f64 v[244:245], v[156:157], s[18:19]
	v_add_f64 v[191:192], v[191:192], v[208:209]
	v_mul_f64 v[208:209], v[184:185], s[4:5]
	v_fma_f64 v[216:217], v[180:181], s[30:31], v[210:211]
	v_fma_f64 v[210:211], v[180:181], s[28:29], v[210:211]
	;; [unrolled: 1-line block ×5, first 2 shown]
	v_fma_f64 v[222:223], v[184:185], s[22:23], -v[222:223]
	v_fma_f64 v[230:231], v[184:185], s[20:21], -v[224:225]
	v_fma_f64 v[224:225], v[184:185], s[20:21], v[224:225]
	v_add_f64 v[118:119], v[234:235], v[118:119]
	v_add_f64 v[116:117], v[236:237], v[116:117]
	;; [unrolled: 1-line block ×3, first 2 shown]
	v_add_f64 v[189:190], v[208:209], -v[189:190]
	v_mul_f64 v[208:209], v[186:187], s[26:27]
	v_mul_f64 v[186:187], v[186:187], s[16:17]
	v_add_f64 v[210:211], v[86:87], v[210:211]
	v_add_f64 v[218:219], v[86:87], v[218:219]
	;; [unrolled: 1-line block ×6, first 2 shown]
	v_mul_f64 v[128:129], v[156:157], s[28:29]
	v_add_f64 v[189:190], v[84:85], v[189:190]
	v_fma_f64 v[214:215], v[180:181], s[38:39], v[208:209]
	v_fma_f64 v[208:209], v[180:181], s[24:25], v[208:209]
	;; [unrolled: 1-line block ×4, first 2 shown]
	v_mul_f64 v[186:187], v[174:175], s[24:25]
	v_mul_f64 v[174:175], v[174:175], s[6:7]
	v_add_f64 v[118:119], v[118:119], v[136:137]
	v_add_f64 v[116:117], v[116:117], v[138:139]
	;; [unrolled: 1-line block ×4, first 2 shown]
	v_mul_f64 v[228:229], v[130:131], s[4:5]
	v_add_f64 v[220:221], v[86:87], v[220:221]
	v_fma_f64 v[226:227], v[184:185], s[26:27], v[186:187]
	v_fma_f64 v[186:187], v[184:185], s[26:27], -v[186:187]
	v_fma_f64 v[232:233], v[184:185], s[16:17], -v[174:175]
	v_fma_f64 v[174:175], v[184:185], s[16:17], v[174:175]
	v_add_f64 v[184:185], v[86:87], v[208:209]
	v_add_f64 v[208:209], v[86:87], v[216:217]
	;; [unrolled: 1-line block ×11, first 2 shown]
	v_fma_f64 v[84:85], v[92:93], s[0:1], v[228:229]
	v_fma_f64 v[228:229], v[92:93], s[40:41], v[228:229]
	v_add_f64 v[118:119], v[118:119], v[152:153]
	v_add_f64 v[116:117], v[116:117], v[148:149]
	;; [unrolled: 1-line block ×3, first 2 shown]
	v_mul_f64 v[168:169], v[120:121], s[40:41]
	v_add_f64 v[184:185], v[228:229], v[184:185]
	v_mul_f64 v[228:229], v[130:131], s[20:21]
	v_add_f64 v[118:119], v[118:119], v[132:133]
	v_add_f64 v[116:117], v[116:117], v[134:135]
	v_fma_f64 v[86:87], v[94:95], s[4:5], v[168:169]
	v_fma_f64 v[168:169], v[94:95], s[4:5], -v[168:169]
	v_add_f64 v[118:119], v[118:119], v[122:123]
	v_add_f64 v[116:117], v[116:117], v[124:125]
	;; [unrolled: 1-line block ×3, first 2 shown]
	v_mul_f64 v[170:171], v[144:145], s[22:23]
	v_add_f64 v[168:169], v[168:169], v[186:187]
	v_fma_f64 v[186:187], v[140:141], s[20:21], -v[244:245]
	v_add_f64 v[114:115], v[118:119], v[114:115]
	v_add_f64 v[112:113], v[116:117], v[112:113]
	v_mul_f64 v[116:117], v[120:121], s[38:39]
	v_fma_f64 v[230:231], v[108:109], s[30:31], v[170:171]
	v_fma_f64 v[170:171], v[108:109], s[28:29], v[170:171]
	v_add_f64 v[98:99], v[114:115], v[98:99]
	v_mul_f64 v[114:115], v[130:131], s[26:27]
	v_add_f64 v[96:97], v[112:113], v[96:97]
	v_fma_f64 v[118:119], v[94:95], s[26:27], -v[116:117]
	v_fma_f64 v[116:117], v[94:95], s[26:27], v[116:117]
	v_add_f64 v[84:85], v[230:231], v[84:85]
	v_mul_f64 v[230:231], v[110:111], s[28:29]
	v_add_f64 v[170:171], v[170:171], v[184:185]
	v_fma_f64 v[112:113], v[92:93], s[38:39], v[114:115]
	v_fma_f64 v[114:115], v[92:93], s[24:25], v[114:115]
	v_add_f64 v[118:119], v[118:119], v[226:227]
	v_add_f64 v[116:117], v[116:117], v[224:225]
	v_fma_f64 v[232:233], v[88:89], s[22:23], v[230:231]
	v_fma_f64 v[184:185], v[88:89], s[22:23], -v[230:231]
	v_add_f64 v[112:113], v[112:113], v[212:213]
	v_add_f64 v[114:115], v[114:115], v[218:219]
	;; [unrolled: 1-line block ×3, first 2 shown]
	v_mul_f64 v[232:233], v[154:155], s[16:17]
	v_add_f64 v[168:169], v[184:185], v[168:169]
	v_fma_f64 v[238:239], v[90:91], s[6:7], v[232:233]
	v_fma_f64 v[184:185], v[90:91], s[34:35], v[232:233]
	v_add_f64 v[84:85], v[238:239], v[84:85]
	v_mul_f64 v[238:239], v[142:143], s[34:35]
	v_add_f64 v[170:171], v[184:185], v[170:171]
	v_fma_f64 v[184:185], v[104:105], s[16:17], -v[238:239]
	v_fma_f64 v[240:241], v[104:105], s[16:17], v[238:239]
	v_add_f64 v[168:169], v[184:185], v[168:169]
	v_fma_f64 v[184:185], v[106:107], s[18:19], v[242:243]
	v_add_f64 v[240:241], v[240:241], v[86:87]
	v_fma_f64 v[86:87], v[106:107], s[36:37], v[242:243]
	v_mul_f64 v[242:243], v[162:163], s[16:17]
	v_add_f64 v[168:169], v[186:187], v[168:169]
	v_add_f64 v[170:171], v[184:185], v[170:171]
	v_fma_f64 v[184:185], v[92:93], s[18:19], v[228:229]
	v_add_f64 v[86:87], v[86:87], v[84:85]
	v_fma_f64 v[84:85], v[140:141], s[20:21], v[244:245]
	v_mul_f64 v[244:245], v[156:157], s[34:35]
	v_add_f64 v[184:185], v[184:185], v[208:209]
	v_mul_f64 v[208:209], v[120:121], s[36:37]
	v_add_f64 v[84:85], v[84:85], v[240:241]
	v_fma_f64 v[186:187], v[94:95], s[20:21], v[208:209]
	v_fma_f64 v[132:133], v[94:95], s[20:21], -v[208:209]
	v_add_f64 v[186:187], v[186:187], v[214:215]
	v_mul_f64 v[214:215], v[144:145], s[4:5]
	v_add_f64 v[132:133], v[132:133], v[216:217]
	v_fma_f64 v[230:231], v[108:109], s[40:41], v[214:215]
	v_fma_f64 v[134:135], v[108:109], s[0:1], v[214:215]
	v_add_f64 v[184:185], v[230:231], v[184:185]
	v_mul_f64 v[230:231], v[110:111], s[0:1]
	v_fma_f64 v[232:233], v[88:89], s[4:5], v[230:231]
	v_fma_f64 v[136:137], v[88:89], s[4:5], -v[230:231]
	v_add_f64 v[186:187], v[232:233], v[186:187]
	v_mul_f64 v[232:233], v[154:155], s[26:27]
	v_add_f64 v[132:133], v[136:137], v[132:133]
	v_fma_f64 v[238:239], v[90:91], s[38:39], v[232:233]
	v_add_f64 v[184:185], v[238:239], v[184:185]
	v_mul_f64 v[238:239], v[142:143], s[24:25]
	v_fma_f64 v[240:241], v[104:105], s[26:27], v[238:239]
	v_add_f64 v[240:241], v[240:241], v[186:187]
	v_fma_f64 v[186:187], v[106:107], s[6:7], v[242:243]
	v_add_f64 v[186:187], v[186:187], v[184:185]
	;; [unrolled: 2-line block ×3, first 2 shown]
	v_mul_f64 v[240:241], v[130:131], s[16:17]
	v_add_f64 v[160:161], v[160:161], v[240:241]
	v_mul_f64 v[240:241], v[94:95], s[16:17]
	v_add_f64 v[160:161], v[160:161], v[191:192]
	v_add_f64 v[158:159], v[240:241], -v[158:159]
	v_mul_f64 v[240:241], v[144:145], s[20:21]
	v_add_f64 v[158:159], v[158:159], v[189:190]
	v_add_f64 v[166:167], v[166:167], v[240:241]
	v_mul_f64 v[240:241], v[88:89], s[20:21]
	v_mul_f64 v[189:190], v[154:155], s[22:23]
	v_add_f64 v[160:161], v[166:167], v[160:161]
	v_add_f64 v[164:165], v[240:241], -v[164:165]
	v_mul_f64 v[166:167], v[104:105], s[22:23]
	v_add_f64 v[176:177], v[176:177], v[189:190]
	v_mul_f64 v[240:241], v[156:157], s[40:41]
	v_add_f64 v[158:159], v[164:165], v[158:159]
	v_add_f64 v[166:167], v[166:167], -v[172:173]
	v_mul_f64 v[172:173], v[140:141], s[26:27]
	v_mul_f64 v[164:165], v[162:163], s[26:27]
	v_add_f64 v[160:161], v[176:177], v[160:161]
	v_mul_f64 v[176:177], v[120:121], s[28:29]
	v_mul_f64 v[120:121], v[144:145], s[16:17]
	v_add_f64 v[158:159], v[166:167], v[158:159]
	v_add_f64 v[172:173], v[172:173], -v[178:179]
	v_add_f64 v[164:165], v[182:183], v[164:165]
	v_mul_f64 v[178:179], v[144:145], s[26:27]
	v_fma_f64 v[166:167], v[94:95], s[22:23], -v[176:177]
	v_fma_f64 v[122:123], v[108:109], s[34:35], v[120:121]
	v_fma_f64 v[94:95], v[94:95], s[22:23], v[176:177]
	;; [unrolled: 1-line block ×3, first 2 shown]
	v_add_f64 v[158:159], v[172:173], v[158:159]
	v_mul_f64 v[172:173], v[130:131], s[22:23]
	v_add_f64 v[160:161], v[164:165], v[160:161]
	v_fma_f64 v[182:183], v[108:109], s[38:39], v[178:179]
	v_add_f64 v[112:113], v[122:123], v[112:113]
	v_mul_f64 v[122:123], v[110:111], s[34:35]
	v_add_f64 v[166:167], v[166:167], v[222:223]
	v_mul_f64 v[222:223], v[162:163], s[4:5]
	v_fma_f64 v[108:109], v[108:109], s[24:25], v[178:179]
	v_add_f64 v[94:95], v[94:95], v[174:175]
	v_add_f64 v[114:115], v[120:121], v[114:115]
	v_fma_f64 v[120:121], v[90:91], s[24:25], v[232:233]
	v_fma_f64 v[164:165], v[92:93], s[28:29], v[172:173]
	v_add_f64 v[164:165], v[164:165], v[220:221]
	v_add_f64 v[164:165], v[182:183], v[164:165]
	v_mul_f64 v[182:183], v[110:111], s[38:39]
	v_fma_f64 v[110:111], v[88:89], s[16:17], -v[122:123]
	v_fma_f64 v[122:123], v[88:89], s[16:17], v[122:123]
	v_fma_f64 v[189:190], v[88:89], s[26:27], -v[182:183]
	v_add_f64 v[110:111], v[110:111], v[118:119]
	v_mul_f64 v[118:119], v[154:155], s[4:5]
	v_fma_f64 v[88:89], v[88:89], s[26:27], v[182:183]
	v_add_f64 v[116:117], v[122:123], v[116:117]
	v_add_f64 v[166:167], v[189:190], v[166:167]
	v_mul_f64 v[189:190], v[154:155], s[20:21]
	v_fma_f64 v[124:125], v[90:91], s[0:1], v[118:119]
	v_fma_f64 v[118:119], v[90:91], s[40:41], v[118:119]
	v_add_f64 v[88:89], v[88:89], v[94:95]
	v_fma_f64 v[191:192], v[90:91], s[36:37], v[189:190]
	v_add_f64 v[112:113], v[124:125], v[112:113]
	v_mul_f64 v[124:125], v[142:143], s[0:1]
	v_fma_f64 v[90:91], v[90:91], s[18:19], v[189:190]
	v_add_f64 v[114:115], v[118:119], v[114:115]
	v_fma_f64 v[118:119], v[106:107], s[34:35], v[242:243]
	v_add_f64 v[164:165], v[191:192], v[164:165]
	v_mul_f64 v[191:192], v[142:143], s[36:37]
	v_fma_f64 v[126:127], v[104:105], s[4:5], -v[124:125]
	v_fma_f64 v[122:123], v[104:105], s[4:5], v[124:125]
	v_fma_f64 v[124:125], v[140:141], s[22:23], v[128:129]
	v_fma_f64 v[220:221], v[104:105], s[20:21], -v[191:192]
	v_add_f64 v[110:111], v[126:127], v[110:111]
	v_mul_f64 v[126:127], v[162:163], s[22:23]
	v_add_f64 v[116:117], v[122:123], v[116:117]
	v_add_f64 v[220:221], v[220:221], v[166:167]
	v_fma_f64 v[166:167], v[106:107], s[40:41], v[222:223]
	v_fma_f64 v[130:131], v[106:107], s[28:29], v[126:127]
	v_add_f64 v[166:167], v[166:167], v[164:165]
	v_add_f64 v[112:113], v[130:131], v[112:113]
	v_fma_f64 v[130:131], v[140:141], s[22:23], -v[128:129]
	v_fma_f64 v[164:165], v[140:141], s[4:5], -v[240:241]
	v_add_f64 v[110:111], v[130:131], v[110:111]
	v_fma_f64 v[130:131], v[92:93], s[36:37], v[228:229]
	v_fma_f64 v[92:93], v[92:93], s[30:31], v[172:173]
	v_add_f64 v[164:165], v[164:165], v[220:221]
	v_add_f64 v[130:131], v[130:131], v[210:211]
	v_add_f64 v[92:93], v[92:93], v[180:181]
	v_add_f64 v[130:131], v[134:135], v[130:131]
	v_add_f64 v[92:93], v[108:109], v[92:93]
	v_fma_f64 v[108:109], v[104:105], s[26:27], -v[238:239]
	v_fma_f64 v[104:105], v[104:105], s[20:21], v[191:192]
	v_add_f64 v[94:95], v[120:121], v[130:131]
	v_add_f64 v[122:123], v[90:91], v[92:93]
	;; [unrolled: 1-line block ×3, first 2 shown]
	v_fma_f64 v[92:93], v[140:141], s[16:17], -v[244:245]
	v_fma_f64 v[120:121], v[106:107], s[30:31], v[126:127]
	v_fma_f64 v[106:107], v[106:107], s[0:1], v[222:223]
	;; [unrolled: 1-line block ×3, first 2 shown]
	v_add_f64 v[104:105], v[104:105], v[88:89]
	v_add_f64 v[90:91], v[118:119], v[94:95]
	;; [unrolled: 1-line block ×3, first 2 shown]
	v_mul_u32_u24_e32 v108, 44, v196
	v_add_f64 v[94:95], v[120:121], v[114:115]
	v_add_f64 v[92:93], v[124:125], v[116:117]
	;; [unrolled: 1-line block ×4, first 2 shown]
	v_or_b32_e32 v108, v108, v195
	v_lshlrev_b32_e32 v108, 4, v108
	ds_write_b128 v108, v[96:99]
	ds_write_b128 v108, v[158:161] offset:64
	ds_write_b128 v108, v[164:167] offset:128
	;; [unrolled: 1-line block ×10, first 2 shown]
.LBB0_5:
	s_or_b32 exec_lo, exec_lo, s33
	v_and_b32_e32 v84, 0xff, v194
	s_waitcnt lgkmcnt(0)
	s_barrier
	buffer_gl0_inv
	s_mov_b32 s16, 0x134454ff
	v_mul_lo_u16 v84, 0xbb, v84
	s_mov_b32 s17, 0x3fee6f0e
	s_mov_b32 s19, 0xbfee6f0e
	;; [unrolled: 1-line block ×4, first 2 shown]
	v_lshrrev_b16 v104, 13, v84
	s_mov_b32 s5, 0x3fe2cf23
	s_mov_b32 s7, 0xbfe2cf23
	;; [unrolled: 1-line block ×4, first 2 shown]
	v_mul_lo_u16 v84, v104, 44
	s_mov_b32 s21, 0x3fd3c6ef
	v_sub_nc_u16 v84, v194, v84
	v_and_b32_e32 v105, 0xff, v84
	v_lshlrev_b32_e32 v84, 6, v105
	s_clause 0x3
	global_load_dwordx4 v[96:99], v84, s[14:15] offset:672
	global_load_dwordx4 v[92:95], v84, s[14:15] offset:688
	;; [unrolled: 1-line block ×4, first 2 shown]
	ds_read_b128 v[106:109], v193 offset:3520
	ds_read_b128 v[116:119], v193 offset:5280
	;; [unrolled: 1-line block ×4, first 2 shown]
	s_waitcnt vmcnt(3) lgkmcnt(3)
	v_mul_f64 v[114:115], v[108:109], v[98:99]
	v_mul_f64 v[124:125], v[106:107], v[98:99]
	s_waitcnt vmcnt(2) lgkmcnt(1)
	v_mul_f64 v[126:127], v[112:113], v[94:95]
	v_mul_f64 v[128:129], v[110:111], v[94:95]
	v_fma_f64 v[140:141], v[106:107], v[96:97], -v[114:115]
	v_fma_f64 v[142:143], v[108:109], v[96:97], v[124:125]
	ds_read_b128 v[106:109], v193 offset:10560
	v_fma_f64 v[144:145], v[110:111], v[92:93], -v[126:127]
	v_fma_f64 v[146:147], v[112:113], v[92:93], v[128:129]
	ds_read_b128 v[124:127], v193 offset:12320
	s_waitcnt vmcnt(1) lgkmcnt(1)
	v_mul_f64 v[110:111], v[108:109], v[90:91]
	v_fma_f64 v[148:149], v[106:107], v[88:89], -v[110:111]
	v_mul_f64 v[106:107], v[106:107], v[90:91]
	v_add_f64 v[180:181], v[144:145], -v[148:149]
	v_fma_f64 v[150:151], v[108:109], v[88:89], v[106:107]
	ds_read_b128 v[106:109], v193 offset:14080
	ds_read_b128 v[128:131], v193 offset:15840
	s_waitcnt vmcnt(0) lgkmcnt(1)
	v_mul_f64 v[110:111], v[106:107], v[86:87]
	v_add_f64 v[176:177], v[146:147], -v[150:151]
	v_fma_f64 v[152:153], v[108:109], v[84:85], v[110:111]
	v_mul_f64 v[108:109], v[108:109], v[86:87]
	v_add_f64 v[174:175], v[142:143], -v[152:153]
	v_fma_f64 v[106:107], v[106:107], v[84:85], -v[108:109]
	v_and_b32_e32 v108, 0xff, v207
	v_mul_lo_u16 v108, 0xbb, v108
	v_lshrrev_b16 v182, 13, v108
	v_mul_lo_u16 v108, v182, 44
	v_sub_nc_u16 v108, v207, v108
	v_add_f64 v[178:179], v[140:141], -v[106:107]
	v_and_b32_e32 v183, 0xff, v108
	v_lshlrev_b32_e32 v134, 6, v183
	s_clause 0x1
	global_load_dwordx4 v[112:115], v134, s[14:15] offset:672
	global_load_dwordx4 v[108:111], v134, s[14:15] offset:688
	s_waitcnt vmcnt(1)
	v_mul_f64 v[132:133], v[118:119], v[114:115]
	v_fma_f64 v[156:157], v[116:117], v[112:113], -v[132:133]
	v_mul_f64 v[116:117], v[116:117], v[114:115]
	v_fma_f64 v[158:159], v[118:119], v[112:113], v[116:117]
	s_waitcnt vmcnt(0)
	v_mul_f64 v[116:117], v[122:123], v[110:111]
	v_fma_f64 v[160:161], v[120:121], v[108:109], -v[116:117]
	v_mul_f64 v[116:117], v[120:121], v[110:111]
	v_fma_f64 v[162:163], v[122:123], v[108:109], v[116:117]
	s_clause 0x1
	global_load_dwordx4 v[120:123], v134, s[14:15] offset:704
	global_load_dwordx4 v[116:119], v134, s[14:15] offset:720
	s_waitcnt vmcnt(1)
	v_mul_f64 v[132:133], v[126:127], v[122:123]
	v_fma_f64 v[164:165], v[124:125], v[120:121], -v[132:133]
	v_mul_f64 v[124:125], v[124:125], v[122:123]
	v_add_f64 v[132:133], v[144:145], v[148:149]
	v_fma_f64 v[166:167], v[126:127], v[120:121], v[124:125]
	s_waitcnt vmcnt(0) lgkmcnt(0)
	v_mul_f64 v[124:125], v[130:131], v[118:119]
	v_add_f64 v[126:127], v[106:107], -v[148:149]
	v_fma_f64 v[168:169], v[128:129], v[116:117], -v[124:125]
	v_mul_f64 v[124:125], v[128:129], v[118:119]
	v_fma_f64 v[170:171], v[130:131], v[116:117], v[124:125]
	v_add_f64 v[124:125], v[140:141], -v[144:145]
	v_add_f64 v[136:137], v[124:125], v[126:127]
	v_add_f64 v[124:125], v[142:143], -v[146:147]
	v_add_f64 v[126:127], v[152:153], -v[150:151]
	v_add_f64 v[138:139], v[124:125], v[126:127]
	ds_read_b128 v[124:127], v193
	ds_read_b128 v[128:131], v193 offset:1760
	s_waitcnt lgkmcnt(0)
	s_barrier
	buffer_gl0_inv
	v_fma_f64 v[154:155], v[132:133], -0.5, v[124:125]
	v_add_f64 v[132:133], v[146:147], v[150:151]
	v_fma_f64 v[172:173], v[132:133], -0.5, v[126:127]
	v_fma_f64 v[132:133], v[174:175], s[16:17], v[154:155]
	v_fma_f64 v[154:155], v[174:175], s[18:19], v[154:155]
	v_fma_f64 v[134:135], v[178:179], s[18:19], v[172:173]
	v_fma_f64 v[172:173], v[178:179], s[16:17], v[172:173]
	v_fma_f64 v[132:133], v[176:177], s[4:5], v[132:133]
	v_fma_f64 v[154:155], v[176:177], s[6:7], v[154:155]
	v_fma_f64 v[134:135], v[180:181], s[6:7], v[134:135]
	v_fma_f64 v[172:173], v[180:181], s[4:5], v[172:173]
	v_fma_f64 v[132:133], v[136:137], s[20:21], v[132:133]
	v_fma_f64 v[136:137], v[136:137], s[20:21], v[154:155]
	v_add_f64 v[154:155], v[140:141], v[106:107]
	v_fma_f64 v[134:135], v[138:139], s[20:21], v[134:135]
	v_fma_f64 v[138:139], v[138:139], s[20:21], v[172:173]
	v_add_f64 v[172:173], v[142:143], v[152:153]
	v_fma_f64 v[154:155], v[154:155], -0.5, v[124:125]
	v_add_f64 v[124:125], v[124:125], v[140:141]
	v_add_f64 v[140:141], v[144:145], -v[140:141]
	v_fma_f64 v[172:173], v[172:173], -0.5, v[126:127]
	v_add_f64 v[126:127], v[126:127], v[142:143]
	v_add_f64 v[142:143], v[146:147], -v[142:143]
	v_add_f64 v[124:125], v[124:125], v[144:145]
	v_add_f64 v[144:145], v[148:149], -v[106:107]
	v_add_f64 v[126:127], v[126:127], v[146:147]
	v_fma_f64 v[146:147], v[176:177], s[18:19], v[154:155]
	v_add_f64 v[124:125], v[124:125], v[148:149]
	v_fma_f64 v[148:149], v[176:177], s[16:17], v[154:155]
	v_add_f64 v[144:145], v[140:141], v[144:145]
	v_add_f64 v[176:177], v[162:163], -v[166:167]
	v_add_f64 v[126:127], v[126:127], v[150:151]
	v_fma_f64 v[140:141], v[174:175], s[4:5], v[146:147]
	v_add_f64 v[124:125], v[124:125], v[106:107]
	v_add_f64 v[106:107], v[150:151], -v[152:153]
	v_fma_f64 v[150:151], v[180:181], s[16:17], v[172:173]
	v_fma_f64 v[146:147], v[174:175], s[6:7], v[148:149]
	v_add_f64 v[174:175], v[158:159], -v[170:171]
	v_add_f64 v[126:127], v[126:127], v[152:153]
	v_fma_f64 v[152:153], v[180:181], s[18:19], v[172:173]
	v_fma_f64 v[140:141], v[144:145], s[20:21], v[140:141]
	v_add_f64 v[106:107], v[142:143], v[106:107]
	v_fma_f64 v[142:143], v[178:179], s[6:7], v[150:151]
	v_fma_f64 v[144:145], v[144:145], s[20:21], v[146:147]
	v_add_f64 v[150:151], v[170:171], -v[166:167]
	v_add_f64 v[180:181], v[160:161], -v[164:165]
	v_fma_f64 v[148:149], v[178:179], s[4:5], v[152:153]
	v_add_f64 v[178:179], v[156:157], -v[168:169]
	v_fma_f64 v[142:143], v[106:107], s[20:21], v[142:143]
	v_fma_f64 v[146:147], v[106:107], s[20:21], v[148:149]
	v_add_f64 v[106:107], v[156:157], -v[160:161]
	v_add_f64 v[148:149], v[168:169], -v[164:165]
	v_add_f64 v[106:107], v[106:107], v[148:149]
	v_add_f64 v[148:149], v[158:159], -v[162:163]
	v_add_f64 v[154:155], v[148:149], v[150:151]
	v_add_f64 v[148:149], v[160:161], v[164:165]
	v_fma_f64 v[152:153], v[148:149], -0.5, v[128:129]
	v_add_f64 v[148:149], v[162:163], v[166:167]
	v_fma_f64 v[172:173], v[148:149], -0.5, v[130:131]
	v_fma_f64 v[148:149], v[174:175], s[16:17], v[152:153]
	v_fma_f64 v[152:153], v[174:175], s[18:19], v[152:153]
	v_fma_f64 v[150:151], v[178:179], s[18:19], v[172:173]
	v_fma_f64 v[148:149], v[176:177], s[4:5], v[148:149]
	v_fma_f64 v[172:173], v[178:179], s[16:17], v[172:173]
	v_fma_f64 v[152:153], v[176:177], s[6:7], v[152:153]
	v_fma_f64 v[150:151], v[180:181], s[6:7], v[150:151]
	v_fma_f64 v[148:149], v[106:107], s[20:21], v[148:149]
	v_fma_f64 v[172:173], v[180:181], s[4:5], v[172:173]
	v_fma_f64 v[152:153], v[106:107], s[20:21], v[152:153]
	v_add_f64 v[106:107], v[156:157], v[168:169]
	v_fma_f64 v[150:151], v[154:155], s[20:21], v[150:151]
	v_fma_f64 v[154:155], v[154:155], s[20:21], v[172:173]
	v_add_f64 v[172:173], v[158:159], v[170:171]
	v_fma_f64 v[106:107], v[106:107], -0.5, v[128:129]
	v_add_f64 v[128:129], v[128:129], v[156:157]
	v_add_f64 v[156:157], v[160:161], -v[156:157]
	v_fma_f64 v[172:173], v[172:173], -0.5, v[130:131]
	v_add_f64 v[130:131], v[130:131], v[158:159]
	v_add_f64 v[128:129], v[128:129], v[160:161]
	v_add_f64 v[160:161], v[164:165], -v[168:169]
	v_add_f64 v[158:159], v[162:163], -v[158:159]
	v_add_f64 v[130:131], v[130:131], v[162:163]
	v_add_f64 v[128:129], v[128:129], v[164:165]
	v_fma_f64 v[164:165], v[176:177], s[18:19], v[106:107]
	v_fma_f64 v[106:107], v[176:177], s[16:17], v[106:107]
	v_add_f64 v[162:163], v[166:167], -v[170:171]
	v_add_f64 v[160:161], v[156:157], v[160:161]
	v_add_f64 v[130:131], v[130:131], v[166:167]
	;; [unrolled: 1-line block ×3, first 2 shown]
	v_fma_f64 v[166:167], v[180:181], s[16:17], v[172:173]
	v_fma_f64 v[168:169], v[180:181], s[18:19], v[172:173]
	;; [unrolled: 1-line block ×4, first 2 shown]
	v_add_f64 v[162:163], v[158:159], v[162:163]
	v_add_f64 v[130:131], v[130:131], v[170:171]
	v_fma_f64 v[158:159], v[178:179], s[6:7], v[166:167]
	v_fma_f64 v[164:165], v[178:179], s[4:5], v[168:169]
	;; [unrolled: 1-line block ×4, first 2 shown]
	v_mov_b32_e32 v106, 0xdc
	v_mul_u32_u24_sdwa v104, v104, v106 dst_sel:DWORD dst_unused:UNUSED_PAD src0_sel:WORD_0 src1_sel:DWORD
	v_add_lshl_u32 v192, v104, v105, 4
	v_mul_u32_u24_sdwa v104, v182, v106 dst_sel:DWORD dst_unused:UNUSED_PAD src0_sel:WORD_0 src1_sel:DWORD
	ds_write_b128 v192, v[124:127]
	ds_write_b128 v192, v[132:135] offset:704
	ds_write_b128 v192, v[140:143] offset:1408
	;; [unrolled: 1-line block ×4, first 2 shown]
	v_add_lshl_u32 v191, v104, v183, 4
	v_lshlrev_b32_e32 v104, 6, v194
	v_fma_f64 v[158:159], v[162:163], s[20:21], v[158:159]
	v_fma_f64 v[162:163], v[162:163], s[20:21], v[164:165]
	ds_write_b128 v191, v[128:131]
	ds_write_b128 v191, v[148:151] offset:704
	ds_write_b128 v191, v[156:159] offset:1408
	v_add_co_u32 v124, s0, s14, v104
	v_add_co_ci_u32_e64 v125, null, s15, 0, s0
	ds_write_b128 v191, v[160:163] offset:2112
	v_add_co_u32 v104, s0, 0x800, v124
	v_add_co_ci_u32_e64 v105, s0, 0, v125, s0
	ds_write_b128 v191, v[152:155] offset:2816
	s_waitcnt lgkmcnt(0)
	s_barrier
	buffer_gl0_inv
	global_load_dwordx4 v[104:107], v[104:105], off offset:1440
	ds_read_b128 v[128:131], v193 offset:3520
	ds_read_b128 v[144:147], v193 offset:5280
	v_add_co_u32 v136, s0, 0xda0, v124
	v_add_co_ci_u32_e64 v137, s0, 0, v125, s0
	global_load_dwordx4 v[124:127], v[136:137], off offset:48
	s_waitcnt vmcnt(1) lgkmcnt(1)
	v_mul_f64 v[132:133], v[130:131], v[106:107]
	v_fma_f64 v[168:169], v[128:129], v[104:105], -v[132:133]
	v_mul_f64 v[128:129], v[128:129], v[106:107]
	v_fma_f64 v[170:171], v[130:131], v[104:105], v[128:129]
	s_clause 0x1
	global_load_dwordx4 v[132:135], v[136:137], off offset:16
	global_load_dwordx4 v[128:131], v[136:137], off offset:32
	ds_read_b128 v[136:139], v193 offset:7040
	ds_read_b128 v[152:155], v193 offset:8800
	s_waitcnt vmcnt(1) lgkmcnt(1)
	v_mul_f64 v[140:141], v[138:139], v[134:135]
	v_fma_f64 v[172:173], v[136:137], v[132:133], -v[140:141]
	v_mul_f64 v[136:137], v[136:137], v[134:135]
	v_fma_f64 v[174:175], v[138:139], v[132:133], v[136:137]
	ds_read_b128 v[136:139], v193 offset:10560
	ds_read_b128 v[156:159], v193 offset:12320
	s_waitcnt vmcnt(0) lgkmcnt(1)
	v_mul_f64 v[140:141], v[138:139], v[130:131]
	v_fma_f64 v[176:177], v[136:137], v[128:129], -v[140:141]
	v_mul_f64 v[136:137], v[136:137], v[130:131]
	v_add_f64 v[227:228], v[172:173], -v[176:177]
	v_fma_f64 v[178:179], v[138:139], v[128:129], v[136:137]
	ds_read_b128 v[136:139], v193 offset:14080
	ds_read_b128 v[160:163], v193 offset:15840
	s_waitcnt lgkmcnt(1)
	v_mul_f64 v[140:141], v[136:137], v[126:127]
	v_add_f64 v[223:224], v[174:175], -v[178:179]
	v_fma_f64 v[180:181], v[138:139], v[124:125], v[140:141]
	v_mul_f64 v[138:139], v[138:139], v[126:127]
	v_add_f64 v[221:222], v[170:171], -v[180:181]
	v_fma_f64 v[182:183], v[136:137], v[124:125], -v[138:139]
	v_lshlrev_b32_e32 v136, 6, v207
	v_add_co_u32 v138, s0, s14, v136
	v_add_co_ci_u32_e64 v139, null, s15, 0, s0
	v_add_co_u32 v136, s0, 0x800, v138
	v_add_co_ci_u32_e64 v137, s0, 0, v139, s0
	v_add_co_u32 v164, s0, 0xda0, v138
	v_add_co_ci_u32_e64 v165, s0, 0, v139, s0
	s_clause 0x1
	global_load_dwordx4 v[140:143], v[136:137], off offset:1440
	global_load_dwordx4 v[136:139], v[164:165], off offset:48
	v_add_f64 v[225:226], v[168:169], -v[182:183]
	s_waitcnt vmcnt(1)
	v_mul_f64 v[148:149], v[146:147], v[142:143]
	v_fma_f64 v[184:185], v[144:145], v[140:141], -v[148:149]
	v_mul_f64 v[144:145], v[144:145], v[142:143]
	v_fma_f64 v[186:187], v[146:147], v[140:141], v[144:145]
	s_clause 0x1
	global_load_dwordx4 v[148:151], v[164:165], off offset:16
	global_load_dwordx4 v[144:147], v[164:165], off offset:32
	s_waitcnt vmcnt(1)
	v_mul_f64 v[164:165], v[154:155], v[150:151]
	v_fma_f64 v[189:190], v[152:153], v[148:149], -v[164:165]
	v_mul_f64 v[152:153], v[152:153], v[150:151]
	v_fma_f64 v[207:208], v[154:155], v[148:149], v[152:153]
	s_waitcnt vmcnt(0)
	v_mul_f64 v[152:153], v[158:159], v[146:147]
	v_add_f64 v[154:155], v[182:183], -v[176:177]
	v_fma_f64 v[209:210], v[156:157], v[144:145], -v[152:153]
	v_mul_f64 v[152:153], v[156:157], v[146:147]
	v_fma_f64 v[211:212], v[158:159], v[144:145], v[152:153]
	s_waitcnt lgkmcnt(0)
	v_mul_f64 v[152:153], v[162:163], v[138:139]
	v_fma_f64 v[213:214], v[160:161], v[136:137], -v[152:153]
	v_mul_f64 v[152:153], v[160:161], v[138:139]
	v_add_f64 v[160:161], v[172:173], v[176:177]
	v_fma_f64 v[215:216], v[162:163], v[136:137], v[152:153]
	v_add_f64 v[152:153], v[168:169], -v[172:173]
	v_add_f64 v[164:165], v[152:153], v[154:155]
	v_add_f64 v[152:153], v[170:171], -v[174:175]
	v_add_f64 v[154:155], v[180:181], -v[178:179]
	v_add_f64 v[166:167], v[152:153], v[154:155]
	ds_read_b128 v[152:155], v193
	ds_read_b128 v[156:159], v193 offset:1760
	s_waitcnt lgkmcnt(1)
	v_fma_f64 v[217:218], v[160:161], -0.5, v[152:153]
	v_add_f64 v[160:161], v[174:175], v[178:179]
	v_fma_f64 v[219:220], v[160:161], -0.5, v[154:155]
	v_fma_f64 v[160:161], v[221:222], s[16:17], v[217:218]
	v_fma_f64 v[217:218], v[221:222], s[18:19], v[217:218]
	v_fma_f64 v[162:163], v[225:226], s[18:19], v[219:220]
	v_fma_f64 v[219:220], v[225:226], s[16:17], v[219:220]
	v_fma_f64 v[160:161], v[223:224], s[4:5], v[160:161]
	v_fma_f64 v[217:218], v[223:224], s[6:7], v[217:218]
	v_fma_f64 v[162:163], v[227:228], s[6:7], v[162:163]
	v_fma_f64 v[219:220], v[227:228], s[4:5], v[219:220]
	v_fma_f64 v[160:161], v[164:165], s[20:21], v[160:161]
	v_fma_f64 v[164:165], v[164:165], s[20:21], v[217:218]
	v_add_f64 v[217:218], v[168:169], v[182:183]
	v_fma_f64 v[162:163], v[166:167], s[20:21], v[162:163]
	v_fma_f64 v[166:167], v[166:167], s[20:21], v[219:220]
	v_add_f64 v[219:220], v[170:171], v[180:181]
	v_fma_f64 v[217:218], v[217:218], -0.5, v[152:153]
	v_add_f64 v[152:153], v[152:153], v[168:169]
	v_add_f64 v[168:169], v[172:173], -v[168:169]
	v_fma_f64 v[219:220], v[219:220], -0.5, v[154:155]
	v_add_f64 v[154:155], v[154:155], v[170:171]
	v_add_f64 v[170:171], v[174:175], -v[170:171]
	v_add_f64 v[152:153], v[152:153], v[172:173]
	v_add_f64 v[172:173], v[176:177], -v[182:183]
	v_add_f64 v[154:155], v[154:155], v[174:175]
	v_add_f64 v[174:175], v[178:179], -v[180:181]
	v_add_f64 v[152:153], v[152:153], v[176:177]
	v_fma_f64 v[176:177], v[223:224], s[18:19], v[217:218]
	v_add_f64 v[172:173], v[168:169], v[172:173]
	v_add_f64 v[154:155], v[154:155], v[178:179]
	v_fma_f64 v[178:179], v[223:224], s[16:17], v[217:218]
	v_add_f64 v[152:153], v[152:153], v[182:183]
	v_fma_f64 v[182:183], v[227:228], s[18:19], v[219:220]
	;; [unrolled: 2-line block ×3, first 2 shown]
	v_add_f64 v[223:224], v[186:187], -v[215:216]
	v_add_f64 v[154:155], v[154:155], v[180:181]
	v_fma_f64 v[180:181], v[227:228], s[16:17], v[219:220]
	v_fma_f64 v[176:177], v[221:222], s[6:7], v[178:179]
	;; [unrolled: 1-line block ×3, first 2 shown]
	v_add_f64 v[221:222], v[207:208], -v[211:212]
	v_fma_f64 v[168:169], v[172:173], s[20:21], v[168:169]
	v_add_f64 v[227:228], v[184:185], -v[213:214]
	v_fma_f64 v[170:171], v[225:226], s[6:7], v[180:181]
	v_fma_f64 v[172:173], v[172:173], s[20:21], v[176:177]
	v_add_f64 v[176:177], v[189:190], -v[184:185]
	v_add_f64 v[225:226], v[189:190], -v[209:210]
	v_fma_f64 v[170:171], v[174:175], s[20:21], v[170:171]
	v_fma_f64 v[174:175], v[174:175], s[20:21], v[178:179]
	v_add_f64 v[178:179], v[209:210], -v[213:214]
	v_add_f64 v[180:181], v[176:177], v[178:179]
	v_add_f64 v[176:177], v[207:208], -v[186:187]
	v_add_f64 v[178:179], v[211:212], -v[215:216]
	v_add_f64 v[182:183], v[176:177], v[178:179]
	v_add_f64 v[176:177], v[184:185], v[213:214]
	s_waitcnt lgkmcnt(0)
	v_fma_f64 v[217:218], v[176:177], -0.5, v[156:157]
	v_add_f64 v[176:177], v[186:187], v[215:216]
	v_fma_f64 v[219:220], v[176:177], -0.5, v[158:159]
	v_fma_f64 v[176:177], v[221:222], s[18:19], v[217:218]
	v_fma_f64 v[217:218], v[221:222], s[16:17], v[217:218]
	;; [unrolled: 1-line block ×10, first 2 shown]
	v_add_f64 v[217:218], v[189:190], v[209:210]
	v_fma_f64 v[178:179], v[182:183], s[20:21], v[178:179]
	v_fma_f64 v[182:183], v[182:183], s[20:21], v[219:220]
	v_add_f64 v[219:220], v[207:208], v[211:212]
	v_fma_f64 v[217:218], v[217:218], -0.5, v[156:157]
	v_add_f64 v[156:157], v[156:157], v[184:185]
	v_add_f64 v[184:185], v[184:185], -v[189:190]
	v_fma_f64 v[219:220], v[219:220], -0.5, v[158:159]
	v_add_f64 v[158:159], v[158:159], v[186:187]
	v_add_f64 v[186:187], v[186:187], -v[207:208]
	v_add_f64 v[156:157], v[156:157], v[189:190]
	v_add_f64 v[189:190], v[213:214], -v[209:210]
	;; [unrolled: 2-line block ×3, first 2 shown]
	v_add_f64 v[156:157], v[156:157], v[209:210]
	v_fma_f64 v[209:210], v[223:224], s[16:17], v[217:218]
	v_add_f64 v[189:190], v[184:185], v[189:190]
	v_add_f64 v[158:159], v[158:159], v[211:212]
	v_fma_f64 v[211:212], v[223:224], s[18:19], v[217:218]
	v_add_f64 v[156:157], v[156:157], v[213:214]
	v_fma_f64 v[213:214], v[227:228], s[18:19], v[219:220]
	;; [unrolled: 2-line block ×4, first 2 shown]
	v_fma_f64 v[207:208], v[221:222], s[6:7], v[211:212]
	v_fma_f64 v[186:187], v[225:226], s[6:7], v[213:214]
	;; [unrolled: 1-line block ×7, first 2 shown]
	ds_write_b128 v193, v[152:155]
	ds_write_b128 v193, v[156:159] offset:1760
	ds_write_b128 v193, v[160:163] offset:3520
	;; [unrolled: 1-line block ×9, first 2 shown]
	v_lshlrev_b32_e32 v152, 4, v194
	s_waitcnt lgkmcnt(0)
	s_barrier
	buffer_gl0_inv
	v_add_co_u32 v215, s0, s12, v152
	v_add_co_ci_u32_e64 v216, null, s13, 0, s0
	v_add_co_u32 v152, s0, 0x4000, v215
	v_add_co_ci_u32_e64 v153, s0, 0, v216, s0
	v_add_co_u32 v156, s0, 0x44c0, v215
	v_add_co_ci_u32_e64 v157, s0, 0, v216, s0
	s_clause 0x1
	global_load_dwordx4 v[152:155], v[152:153], off offset:1216
	global_load_dwordx4 v[156:159], v[156:157], off offset:1760
	ds_read_b128 v[160:163], v193
	ds_read_b128 v[164:167], v193 offset:1760
	s_waitcnt vmcnt(1) lgkmcnt(1)
	v_mul_f64 v[168:169], v[162:163], v[154:155]
	v_mul_f64 v[154:155], v[160:161], v[154:155]
	v_fma_f64 v[160:161], v[160:161], v[152:153], -v[168:169]
	v_add_co_u32 v168, s0, 0x6000, v215
	v_add_co_ci_u32_e64 v169, s0, 0, v216, s0
	v_fma_f64 v[162:163], v[162:163], v[152:153], v[154:155]
	s_clause 0x1
	global_load_dwordx4 v[152:155], v[168:169], off offset:1824
	global_load_dwordx4 v[168:171], v[168:169], off offset:64
	ds_read_b128 v[172:175], v193 offset:8800
	ds_read_b128 v[176:179], v193 offset:7040
	s_waitcnt vmcnt(1) lgkmcnt(1)
	v_mul_f64 v[180:181], v[174:175], v[154:155]
	v_mul_f64 v[154:155], v[172:173], v[154:155]
	v_fma_f64 v[172:173], v[172:173], v[152:153], -v[180:181]
	v_fma_f64 v[174:175], v[174:175], v[152:153], v[154:155]
	v_mul_f64 v[152:153], v[166:167], v[158:159]
	v_mul_f64 v[154:155], v[164:165], v[158:159]
	v_fma_f64 v[152:153], v[164:165], v[156:157], -v[152:153]
	v_fma_f64 v[154:155], v[166:167], v[156:157], v[154:155]
	v_add_co_u32 v156, s0, 0x6800, v215
	v_add_co_ci_u32_e64 v157, s0, 0, v216, s0
	v_add_co_u32 v164, s0, 0x5000, v215
	v_add_co_ci_u32_e64 v165, s0, 0, v216, s0
	s_clause 0x1
	global_load_dwordx4 v[156:159], v[156:157], off offset:1536
	global_load_dwordx4 v[164:167], v[164:165], off offset:640
	ds_read_b128 v[180:183], v193 offset:10560
	ds_read_b128 v[184:187], v193 offset:12320
	s_waitcnt vmcnt(1) lgkmcnt(1)
	v_mul_f64 v[189:190], v[182:183], v[158:159]
	v_mul_f64 v[158:159], v[180:181], v[158:159]
	v_fma_f64 v[180:181], v[180:181], v[156:157], -v[189:190]
	v_fma_f64 v[182:183], v[182:183], v[156:157], v[158:159]
	ds_read_b128 v[156:159], v193 offset:3520
	ds_read_b128 v[207:210], v193 offset:5280
	s_waitcnt vmcnt(0) lgkmcnt(1)
	v_mul_f64 v[189:190], v[158:159], v[166:167]
	v_mul_f64 v[166:167], v[156:157], v[166:167]
	v_fma_f64 v[156:157], v[156:157], v[164:165], -v[189:190]
	v_fma_f64 v[158:159], v[158:159], v[164:165], v[166:167]
	v_add_co_u32 v164, s0, 0x7000, v215
	v_add_co_ci_u32_e64 v165, s0, 0, v216, s0
	v_add_co_u32 v189, s0, 0x5800, v215
	v_add_co_ci_u32_e64 v190, s0, 0, v216, s0
	s_clause 0x1
	global_load_dwordx4 v[164:167], v[164:165], off offset:1248
	global_load_dwordx4 v[211:214], v[189:190], off offset:352
	s_waitcnt vmcnt(1)
	v_mul_f64 v[189:190], v[186:187], v[166:167]
	v_mul_f64 v[166:167], v[184:185], v[166:167]
	v_fma_f64 v[184:185], v[184:185], v[164:165], -v[189:190]
	v_fma_f64 v[186:187], v[186:187], v[164:165], v[166:167]
	s_waitcnt vmcnt(0) lgkmcnt(0)
	v_mul_f64 v[164:165], v[209:210], v[213:214]
	v_mul_f64 v[166:167], v[207:208], v[213:214]
	v_add_co_u32 v189, s0, 0x7800, v215
	v_add_co_ci_u32_e64 v190, s0, 0, v216, s0
	v_fma_f64 v[164:165], v[207:208], v[211:212], -v[164:165]
	v_fma_f64 v[166:167], v[209:210], v[211:212], v[166:167]
	v_add_co_u32 v211, s0, 0x8000, v215
	v_add_co_ci_u32_e64 v212, s0, 0, v216, s0
	s_clause 0x1
	global_load_dwordx4 v[207:210], v[189:190], off offset:960
	global_load_dwordx4 v[211:214], v[211:212], off offset:672
	ds_read_b128 v[215:218], v193 offset:14080
	ds_read_b128 v[219:222], v193 offset:15840
	s_waitcnt vmcnt(1) lgkmcnt(1)
	v_mul_f64 v[189:190], v[217:218], v[209:210]
	v_mul_f64 v[209:210], v[215:216], v[209:210]
	v_fma_f64 v[215:216], v[215:216], v[207:208], -v[189:190]
	v_mul_f64 v[189:190], v[178:179], v[170:171]
	v_mul_f64 v[170:171], v[176:177], v[170:171]
	v_fma_f64 v[217:218], v[217:218], v[207:208], v[209:210]
	v_fma_f64 v[176:177], v[176:177], v[168:169], -v[189:190]
	v_fma_f64 v[178:179], v[178:179], v[168:169], v[170:171]
	s_waitcnt vmcnt(0) lgkmcnt(0)
	v_mul_f64 v[168:169], v[221:222], v[213:214]
	v_mul_f64 v[170:171], v[219:220], v[213:214]
	v_fma_f64 v[168:169], v[219:220], v[211:212], -v[168:169]
	v_fma_f64 v[170:171], v[221:222], v[211:212], v[170:171]
	ds_write_b128 v193, v[160:163]
	ds_write_b128 v193, v[172:175] offset:8800
	ds_write_b128 v193, v[152:155] offset:1760
	;; [unrolled: 1-line block ×9, first 2 shown]
	s_waitcnt lgkmcnt(0)
	s_barrier
	buffer_gl0_inv
	ds_read_b128 v[152:155], v193 offset:8800
	ds_read_b128 v[156:159], v193
	ds_read_b128 v[160:163], v193 offset:1760
	ds_read_b128 v[164:167], v193 offset:7040
	;; [unrolled: 1-line block ×8, first 2 shown]
	s_waitcnt lgkmcnt(0)
	s_barrier
	buffer_gl0_inv
	v_add_f64 v[152:153], v[156:157], -v[152:153]
	v_add_f64 v[154:155], v[158:159], -v[154:155]
	v_fma_f64 v[156:157], v[156:157], 2.0, -v[152:153]
	v_fma_f64 v[158:159], v[158:159], 2.0, -v[154:155]
	ds_write_b128 v197, v[152:155] offset:16
	ds_write_b128 v197, v[156:159]
	v_add_f64 v[152:153], v[160:161], -v[168:169]
	v_add_f64 v[154:155], v[162:163], -v[170:171]
	v_fma_f64 v[156:157], v[160:161], 2.0, -v[152:153]
	v_fma_f64 v[158:159], v[162:163], 2.0, -v[154:155]
	ds_write_b128 v206, v[156:159]
	ds_write_b128 v206, v[152:155] offset:16
	v_add_f64 v[152:153], v[176:177], -v[172:173]
	v_add_f64 v[154:155], v[178:179], -v[174:175]
	v_fma_f64 v[156:157], v[176:177], 2.0, -v[152:153]
	v_fma_f64 v[158:159], v[178:179], 2.0, -v[154:155]
	ds_write_b128 v205, v[156:159]
	ds_write_b128 v205, v[152:155] offset:16
	;; [unrolled: 6-line block ×4, first 2 shown]
	s_waitcnt lgkmcnt(0)
	s_barrier
	buffer_gl0_inv
	ds_read_b128 v[152:155], v193 offset:8800
	ds_read_b128 v[184:187], v193 offset:7040
	s_waitcnt lgkmcnt(1)
	v_mul_f64 v[156:157], v[42:43], v[154:155]
	v_fma_f64 v[160:161], v[40:41], v[152:153], v[156:157]
	v_mul_f64 v[152:153], v[42:43], v[152:153]
	v_fma_f64 v[162:163], v[40:41], v[154:155], -v[152:153]
	ds_read_b128 v[152:155], v193 offset:10560
	ds_read_b128 v[156:159], v193 offset:12320
	s_waitcnt lgkmcnt(1)
	v_mul_f64 v[164:165], v[42:43], v[154:155]
	v_fma_f64 v[164:165], v[40:41], v[152:153], v[164:165]
	v_mul_f64 v[152:153], v[42:43], v[152:153]
	v_fma_f64 v[166:167], v[40:41], v[154:155], -v[152:153]
	s_waitcnt lgkmcnt(0)
	v_mul_f64 v[152:153], v[42:43], v[158:159]
	v_fma_f64 v[168:169], v[40:41], v[156:157], v[152:153]
	v_mul_f64 v[152:153], v[42:43], v[156:157]
	v_fma_f64 v[170:171], v[40:41], v[158:159], -v[152:153]
	ds_read_b128 v[152:155], v193 offset:14080
	ds_read_b128 v[156:159], v193 offset:15840
	s_waitcnt lgkmcnt(1)
	v_mul_f64 v[172:173], v[42:43], v[154:155]
	v_fma_f64 v[172:173], v[40:41], v[152:153], v[172:173]
	v_mul_f64 v[152:153], v[42:43], v[152:153]
	v_fma_f64 v[174:175], v[40:41], v[154:155], -v[152:153]
	s_waitcnt lgkmcnt(0)
	v_mul_f64 v[152:153], v[42:43], v[158:159]
	v_mul_f64 v[42:43], v[42:43], v[156:157]
	v_fma_f64 v[180:181], v[40:41], v[156:157], v[152:153]
	v_fma_f64 v[182:183], v[40:41], v[158:159], -v[42:43]
	ds_read_b128 v[40:43], v193
	ds_read_b128 v[152:155], v193 offset:1760
	s_waitcnt lgkmcnt(1)
	v_add_f64 v[160:161], v[40:41], -v[160:161]
	s_waitcnt lgkmcnt(0)
	v_add_f64 v[156:157], v[152:153], -v[164:165]
	v_add_f64 v[158:159], v[154:155], -v[166:167]
	ds_read_b128 v[164:167], v193 offset:3520
	ds_read_b128 v[176:179], v193 offset:5280
	v_add_f64 v[162:163], v[42:43], -v[162:163]
	v_add_f64 v[180:181], v[184:185], -v[180:181]
	v_add_f64 v[182:183], v[186:187], -v[182:183]
	s_waitcnt lgkmcnt(0)
	s_barrier
	buffer_gl0_inv
	v_add_f64 v[168:169], v[164:165], -v[168:169]
	v_add_f64 v[170:171], v[166:167], -v[170:171]
	;; [unrolled: 1-line block ×4, first 2 shown]
	v_fma_f64 v[40:41], v[40:41], 2.0, -v[160:161]
	v_fma_f64 v[42:43], v[42:43], 2.0, -v[162:163]
	;; [unrolled: 1-line block ×10, first 2 shown]
	ds_write_b128 v202, v[160:163] offset:32
	ds_write_b128 v202, v[40:43]
	ds_write_b128 v201, v[152:155]
	ds_write_b128 v201, v[156:159] offset:32
	ds_write_b128 v200, v[164:167]
	ds_write_b128 v200, v[168:171] offset:32
	;; [unrolled: 2-line block ×4, first 2 shown]
	s_waitcnt lgkmcnt(0)
	s_barrier
	buffer_gl0_inv
	s_and_saveexec_b32 s0, vcc_lo
	s_cbranch_execz .LBB0_7
; %bb.6:
	ds_read_b128 v[40:43], v193
	ds_read_b128 v[160:163], v193 offset:1600
	ds_read_b128 v[152:155], v193 offset:3200
	;; [unrolled: 1-line block ×10, first 2 shown]
.LBB0_7:
	s_or_b32 exec_lo, exec_lo, s0
	s_waitcnt lgkmcnt(0)
	s_barrier
	buffer_gl0_inv
	s_and_saveexec_b32 s30, vcc_lo
	s_cbranch_execz .LBB0_9
; %bb.8:
	v_mul_f64 v[189:190], v[46:47], v[162:163]
	v_mul_f64 v[46:47], v[46:47], v[160:161]
	s_mov_b32 s7, 0x3fed1bb4
	s_mov_b32 s6, 0x8eee2c13
	;; [unrolled: 1-line block ×20, first 2 shown]
	v_fma_f64 v[189:190], v[44:45], v[160:161], v[189:190]
	v_fma_f64 v[160:161], v[44:45], v[162:163], -v[46:47]
	v_mul_f64 v[44:45], v[74:75], v[102:103]
	v_mul_f64 v[46:47], v[74:75], v[100:101]
	;; [unrolled: 1-line block ×3, first 2 shown]
	s_mov_b32 s15, 0x3feaeb8c
	s_mov_b32 s17, 0xbfeeb42a
	s_mov_b32 s29, 0x3fefac9e
	s_mov_b32 s28, s4
	v_fma_f64 v[44:45], v[72:73], v[100:101], v[44:45]
	v_fma_f64 v[46:47], v[72:73], v[102:103], -v[46:47]
	v_mul_f64 v[72:73], v[82:83], v[170:171]
	v_add_f64 v[162:163], v[189:190], -v[44:45]
	v_add_f64 v[209:210], v[189:190], v[44:45]
	v_fma_f64 v[72:73], v[80:81], v[168:169], v[72:73]
	v_fma_f64 v[80:81], v[80:81], v[170:171], -v[74:75]
	v_mul_f64 v[74:75], v[78:79], v[178:179]
	v_mul_f64 v[78:79], v[78:79], v[176:177]
	v_add_f64 v[189:190], v[40:41], v[189:190]
	v_fma_f64 v[74:75], v[76:77], v[176:177], v[74:75]
	v_fma_f64 v[76:77], v[76:77], v[178:179], -v[78:79]
	v_mul_f64 v[78:79], v[70:71], v[166:167]
	v_mul_f64 v[70:71], v[70:71], v[164:165]
	;; [unrolled: 1-line block ×3, first 2 shown]
	v_add_f64 v[245:246], v[72:73], v[74:75]
	v_add_f64 v[241:242], v[80:81], v[76:77]
	v_fma_f64 v[78:79], v[68:69], v[164:165], v[78:79]
	v_fma_f64 v[70:71], v[68:69], v[166:167], -v[70:71]
	v_mul_f64 v[68:69], v[66:67], v[174:175]
	v_mul_f64 v[66:67], v[66:67], v[172:173]
	v_fma_f64 v[68:69], v[64:65], v[172:173], v[68:69]
	v_fma_f64 v[64:65], v[64:65], v[174:175], -v[66:67]
	v_mul_f64 v[66:67], v[62:63], v[158:159]
	v_mul_f64 v[62:63], v[62:63], v[156:157]
	;; [unrolled: 1-line block ×4, first 2 shown]
	v_add_f64 v[100:101], v[78:79], -v[68:69]
	v_add_f64 v[102:103], v[70:71], -v[64:65]
	v_fma_f64 v[66:67], v[60:61], v[156:157], v[66:67]
	v_fma_f64 v[62:63], v[60:61], v[158:159], -v[62:63]
	v_mul_f64 v[60:61], v[58:59], v[186:187]
	v_mul_f64 v[58:59], v[58:59], v[184:185]
	;; [unrolled: 1-line block ×4, first 2 shown]
	v_fma_f64 v[60:61], v[56:57], v[184:185], v[60:61]
	v_fma_f64 v[56:57], v[56:57], v[186:187], -v[58:59]
	v_mul_f64 v[58:59], v[50:51], v[154:155]
	v_mul_f64 v[50:51], v[50:51], v[152:153]
	v_fma_f64 v[58:59], v[48:49], v[152:153], v[58:59]
	v_fma_f64 v[82:83], v[48:49], v[154:155], -v[50:51]
	v_mul_f64 v[48:49], v[54:55], v[182:183]
	v_mul_f64 v[50:51], v[54:55], v[180:181]
	v_add_f64 v[54:55], v[80:81], -v[76:77]
	v_add_f64 v[154:155], v[66:67], -v[60:61]
	;; [unrolled: 1-line block ×3, first 2 shown]
	v_fma_f64 v[48:49], v[52:53], v[180:181], v[48:49]
	v_fma_f64 v[50:51], v[52:53], v[182:183], -v[50:51]
	v_add_f64 v[52:53], v[72:73], -v[74:75]
	v_mul_f64 v[166:167], v[54:55], s[6:7]
	v_mul_f64 v[168:169], v[154:155], s[6:7]
	;; [unrolled: 1-line block ×3, first 2 shown]
	v_add_f64 v[180:181], v[160:161], v[46:47]
	v_mul_f64 v[229:230], v[154:155], s[20:21]
	v_mul_f64 v[233:234], v[152:153], s[20:21]
	;; [unrolled: 1-line block ×3, first 2 shown]
	v_add_f64 v[221:222], v[58:59], -v[48:49]
	v_add_f64 v[223:224], v[82:83], v[50:51]
	v_mul_f64 v[164:165], v[52:53], s[6:7]
	s_mov_b32 s7, 0xbfed1bb4
	v_add_f64 v[225:226], v[82:83], -v[50:51]
	v_mul_f64 v[178:179], v[162:163], s[6:7]
	v_mul_f64 v[162:163], v[162:163], s[22:23]
	v_fma_f64 v[182:183], v[180:181], s[16:17], v[172:173]
	v_fma_f64 v[172:173], v[180:181], s[16:17], -v[172:173]
	v_fma_f64 v[184:185], v[180:181], s[12:13], v[174:175]
	v_fma_f64 v[174:175], v[180:181], s[12:13], -v[174:175]
	;; [unrolled: 2-line block ×3, first 2 shown]
	v_add_f64 v[227:228], v[58:59], v[48:49]
	v_add_f64 v[58:59], v[189:190], v[58:59]
	v_mul_f64 v[243:244], v[52:53], s[4:5]
	v_fma_f64 v[197:198], v[180:181], s[18:19], -v[178:179]
	v_fma_f64 v[178:179], v[180:181], s[18:19], v[178:179]
	v_fma_f64 v[199:200], v[180:181], s[14:15], -v[162:163]
	v_fma_f64 v[162:163], v[180:181], s[14:15], v[162:163]
	v_add_f64 v[180:181], v[160:161], -v[46:47]
	v_add_f64 v[172:173], v[42:43], v[172:173]
	v_add_f64 v[184:185], v[42:43], v[184:185]
	;; [unrolled: 1-line block ×9, first 2 shown]
	v_mul_f64 v[201:202], v[180:181], s[26:27]
	v_mul_f64 v[203:204], v[180:181], s[20:21]
	;; [unrolled: 1-line block ×5, first 2 shown]
	v_add_f64 v[58:59], v[58:59], v[78:79]
	v_fma_f64 v[211:212], v[209:210], s[16:17], -v[201:202]
	v_fma_f64 v[213:214], v[209:210], s[12:13], -v[203:204]
	;; [unrolled: 1-line block ×3, first 2 shown]
	v_fma_f64 v[219:220], v[209:210], s[14:15], v[207:208]
	v_fma_f64 v[201:202], v[209:210], s[16:17], v[201:202]
	;; [unrolled: 1-line block ×5, first 2 shown]
	v_fma_f64 v[180:181], v[209:210], s[18:19], -v[180:181]
	v_fma_f64 v[207:208], v[209:210], s[14:15], -v[207:208]
	v_add_f64 v[209:210], v[42:43], v[160:161]
	v_add_f64 v[160:161], v[42:43], v[182:183]
	;; [unrolled: 1-line block ×3, first 2 shown]
	v_mul_f64 v[72:73], v[52:53], s[26:27]
	v_add_f64 v[182:183], v[40:41], v[211:212]
	v_add_f64 v[211:212], v[40:41], v[213:214]
	;; [unrolled: 1-line block ×5, first 2 shown]
	v_mul_f64 v[162:163], v[221:222], s[24:25]
	v_add_f64 v[201:202], v[40:41], v[201:202]
	v_add_f64 v[203:204], v[40:41], v[203:204]
	;; [unrolled: 1-line block ×8, first 2 shown]
	v_mul_f64 v[74:75], v[54:55], s[26:27]
	v_fma_f64 v[40:41], v[223:224], s[14:15], v[162:163]
	v_fma_f64 v[162:163], v[223:224], s[14:15], -v[162:163]
	v_add_f64 v[58:59], v[58:59], v[68:69]
	v_add_f64 v[40:41], v[40:41], v[160:161]
	v_mul_f64 v[160:161], v[225:226], s[24:25]
	v_add_f64 v[162:163], v[162:163], v[172:173]
	v_add_f64 v[58:59], v[58:59], v[60:61]
	v_fma_f64 v[42:43], v[227:228], s[14:15], -v[160:161]
	v_fma_f64 v[160:161], v[227:228], s[14:15], v[160:161]
	v_add_f64 v[48:49], v[58:59], v[48:49]
	v_add_f64 v[42:43], v[42:43], v[182:183]
	;; [unrolled: 1-line block ×5, first 2 shown]
	v_mul_f64 v[201:202], v[154:155], s[22:23]
	v_add_f64 v[44:45], v[48:49], v[44:45]
	v_fma_f64 v[231:232], v[182:183], s[12:13], v[229:230]
	v_fma_f64 v[172:173], v[182:183], s[12:13], -v[229:230]
	v_add_f64 v[62:63], v[62:63], v[70:71]
	v_add_f64 v[40:41], v[231:232], v[40:41]
	v_add_f64 v[231:232], v[66:67], v[60:61]
	v_add_f64 v[162:163], v[172:173], v[162:163]
	v_add_f64 v[62:63], v[62:63], v[80:81]
	v_mul_f64 v[60:61], v[221:222], s[6:7]
	v_mul_f64 v[66:67], v[152:153], s[4:5]
	v_fma_f64 v[235:236], v[231:232], s[12:13], -v[233:234]
	v_fma_f64 v[172:173], v[231:232], s[12:13], v[233:234]
	v_add_f64 v[62:63], v[62:63], v[76:77]
	v_fma_f64 v[48:49], v[223:224], s[18:19], -v[60:61]
	v_mul_f64 v[76:77], v[221:222], s[20:21]
	v_fma_f64 v[60:61], v[223:224], s[18:19], v[60:61]
	v_add_f64 v[42:43], v[235:236], v[42:43]
	v_add_f64 v[235:236], v[70:71], v[64:65]
	;; [unrolled: 1-line block ×3, first 2 shown]
	v_mul_f64 v[172:173], v[221:222], s[28:29]
	v_add_f64 v[62:63], v[62:63], v[64:65]
	v_mul_f64 v[64:65], v[154:155], s[4:5]
	v_add_f64 v[48:49], v[48:49], v[199:200]
	v_mul_f64 v[70:71], v[102:103], s[20:21]
	v_fma_f64 v[199:200], v[182:183], s[18:19], -v[168:169]
	v_fma_f64 v[168:169], v[182:183], s[18:19], v[168:169]
	v_add_f64 v[60:61], v[60:61], v[219:220]
	v_fma_f64 v[237:238], v[235:236], s[18:19], v[156:157]
	v_fma_f64 v[156:157], v[235:236], s[18:19], -v[156:157]
	v_add_f64 v[56:57], v[62:63], v[56:57]
	v_mul_f64 v[62:63], v[225:226], s[6:7]
	v_add_f64 v[40:41], v[237:238], v[40:41]
	v_add_f64 v[237:238], v[78:79], v[68:69]
	;; [unrolled: 1-line block ×3, first 2 shown]
	v_fma_f64 v[162:163], v[245:246], s[0:1], v[247:248]
	v_add_f64 v[50:51], v[56:57], v[50:51]
	v_fma_f64 v[56:57], v[182:183], s[0:1], -v[64:65]
	v_mul_f64 v[68:69], v[100:101], s[20:21]
	v_mul_f64 v[78:79], v[225:226], s[20:21]
	v_fma_f64 v[64:65], v[182:183], s[0:1], v[64:65]
	v_fma_f64 v[239:240], v[237:238], s[18:19], -v[158:159]
	v_fma_f64 v[158:159], v[237:238], s[18:19], v[158:159]
	v_add_f64 v[46:47], v[50:51], v[46:47]
	v_fma_f64 v[50:51], v[227:228], s[18:19], v[62:63]
	v_add_f64 v[48:49], v[56:57], v[48:49]
	v_fma_f64 v[56:57], v[231:232], s[0:1], v[66:67]
	v_fma_f64 v[58:59], v[227:228], s[12:13], v[78:79]
	v_fma_f64 v[78:79], v[227:228], s[12:13], -v[78:79]
	v_fma_f64 v[62:63], v[227:228], s[18:19], -v[62:63]
	;; [unrolled: 1-line block ×3, first 2 shown]
	v_add_f64 v[60:61], v[64:65], v[60:61]
	v_add_f64 v[239:240], v[239:240], v[42:43]
	v_add_f64 v[160:161], v[158:159], v[160:161]
	v_fma_f64 v[158:159], v[241:242], s[0:1], -v[243:244]
	v_fma_f64 v[42:43], v[241:242], s[0:1], v[243:244]
	v_add_f64 v[50:51], v[50:51], v[215:216]
	v_add_f64 v[58:59], v[58:59], v[217:218]
	;; [unrolled: 1-line block ×6, first 2 shown]
	v_fma_f64 v[160:161], v[223:224], s[0:1], v[172:173]
	v_add_f64 v[50:51], v[56:57], v[50:51]
	v_fma_f64 v[56:57], v[235:236], s[12:13], -v[68:69]
	v_fma_f64 v[172:173], v[223:224], s[0:1], -v[172:173]
	v_add_f64 v[42:43], v[42:43], v[40:41]
	v_fma_f64 v[40:41], v[245:246], s[0:1], -v[247:248]
	v_fma_f64 v[68:69], v[235:236], s[12:13], v[68:69]
	v_add_f64 v[62:63], v[66:67], v[62:63]
	v_add_f64 v[160:161], v[160:161], v[184:185]
	v_mul_f64 v[184:185], v[225:226], s[28:29]
	v_add_f64 v[48:49], v[56:57], v[48:49]
	v_fma_f64 v[56:57], v[237:238], s[12:13], v[70:71]
	v_add_f64 v[172:173], v[172:173], v[174:175]
	v_add_f64 v[40:41], v[40:41], v[239:240]
	v_fma_f64 v[70:71], v[237:238], s[12:13], -v[70:71]
	v_add_f64 v[68:69], v[68:69], v[60:61]
	v_fma_f64 v[162:163], v[227:228], s[0:1], -v[184:185]
	v_fma_f64 v[174:175], v[227:228], s[0:1], v[184:185]
	v_add_f64 v[56:57], v[56:57], v[50:51]
	v_fma_f64 v[50:51], v[241:242], s[16:17], -v[72:73]
	v_fma_f64 v[184:185], v[182:183], s[14:15], -v[201:202]
	v_fma_f64 v[72:73], v[241:242], s[16:17], v[72:73]
	v_add_f64 v[162:163], v[162:163], v[211:212]
	v_fma_f64 v[211:212], v[182:183], s[14:15], v[201:202]
	v_add_f64 v[174:175], v[174:175], v[203:204]
	v_add_f64 v[50:51], v[50:51], v[48:49]
	v_fma_f64 v[48:49], v[245:246], s[16:17], v[74:75]
	v_add_f64 v[172:173], v[184:185], v[172:173]
	v_mul_f64 v[201:202], v[54:55], s[20:21]
	v_fma_f64 v[74:75], v[245:246], s[16:17], -v[74:75]
	v_add_f64 v[160:161], v[211:212], v[160:161]
	v_mul_f64 v[211:212], v[152:153], s[22:23]
	v_add_f64 v[48:49], v[48:49], v[56:57]
	v_fma_f64 v[56:57], v[223:224], s[12:13], -v[76:77]
	v_fma_f64 v[76:77], v[223:224], s[12:13], v[76:77]
	v_fma_f64 v[60:61], v[245:246], s[12:13], -v[201:202]
	v_fma_f64 v[229:230], v[231:232], s[14:15], -v[211:212]
	v_fma_f64 v[184:185], v[231:232], s[14:15], v[211:212]
	v_add_f64 v[56:57], v[56:57], v[197:198]
	v_add_f64 v[76:77], v[76:77], v[178:179]
	;; [unrolled: 1-line block ×3, first 2 shown]
	v_mul_f64 v[229:230], v[100:101], s[26:27]
	v_add_f64 v[174:175], v[184:185], v[174:175]
	v_fma_f64 v[233:234], v[235:236], s[16:17], v[229:230]
	v_fma_f64 v[184:185], v[235:236], s[16:17], -v[229:230]
	v_add_f64 v[160:161], v[233:234], v[160:161]
	v_mul_f64 v[233:234], v[102:103], s[26:27]
	s_mov_b32 s27, 0x3fd207e7
	v_add_f64 v[172:173], v[184:185], v[172:173]
	v_mul_f64 v[80:81], v[154:155], s[26:27]
	v_fma_f64 v[239:240], v[237:238], s[16:17], -v[233:234]
	v_fma_f64 v[184:185], v[237:238], s[16:17], v[233:234]
	v_fma_f64 v[82:83], v[182:183], s[16:17], -v[80:81]
	v_fma_f64 v[80:81], v[182:183], s[16:17], v[80:81]
	v_add_f64 v[239:240], v[239:240], v[162:163]
	v_fma_f64 v[162:163], v[241:242], s[18:19], v[164:165]
	v_add_f64 v[174:175], v[184:185], v[174:175]
	v_add_f64 v[56:57], v[82:83], v[56:57]
	v_mul_f64 v[82:83], v[152:153], s[26:27]
	v_fma_f64 v[164:165], v[241:242], s[18:19], -v[164:165]
	v_fma_f64 v[184:185], v[245:246], s[18:19], v[166:167]
	v_add_f64 v[76:77], v[80:81], v[76:77]
	v_add_f64 v[162:163], v[162:163], v[160:161]
	v_fma_f64 v[160:161], v[245:246], s[18:19], -v[166:167]
	v_fma_f64 v[152:153], v[231:232], s[16:17], v[82:83]
	v_add_f64 v[166:167], v[164:165], v[172:173]
	v_add_f64 v[164:165], v[184:185], v[174:175]
	v_mul_f64 v[174:175], v[52:53], s[24:25]
	v_mul_f64 v[184:185], v[54:55], s[24:25]
	v_fma_f64 v[82:83], v[231:232], s[16:17], -v[82:83]
	v_add_f64 v[160:161], v[160:161], v[239:240]
	v_add_f64 v[58:59], v[152:153], v[58:59]
	v_mul_f64 v[152:153], v[100:101], s[28:29]
	v_mul_f64 v[100:101], v[100:101], s[22:23]
	v_add_f64 v[78:79], v[82:83], v[78:79]
	v_fma_f64 v[154:155], v[235:236], s[0:1], -v[152:153]
	v_fma_f64 v[80:81], v[235:236], s[14:15], v[100:101]
	v_fma_f64 v[82:83], v[235:236], s[0:1], v[152:153]
	v_add_f64 v[56:57], v[154:155], v[56:57]
	v_mul_f64 v[154:155], v[102:103], s[28:29]
	v_mul_f64 v[102:103], v[102:103], s[22:23]
	v_add_f64 v[76:77], v[82:83], v[76:77]
	v_fma_f64 v[82:83], v[241:242], s[14:15], v[174:175]
	v_fma_f64 v[172:173], v[237:238], s[0:1], v[154:155]
	v_fma_f64 v[64:65], v[237:238], s[14:15], -v[102:103]
	v_add_f64 v[172:173], v[172:173], v[58:59]
	v_fma_f64 v[58:59], v[241:242], s[14:15], -v[174:175]
	v_add_f64 v[58:59], v[58:59], v[56:57]
	v_fma_f64 v[56:57], v[245:246], s[14:15], v[184:185]
	v_add_f64 v[56:57], v[56:57], v[172:173]
	v_mul_f64 v[172:173], v[221:222], s[26:27]
	v_fma_f64 v[189:190], v[223:224], s[16:17], -v[172:173]
	v_fma_f64 v[172:173], v[223:224], s[16:17], v[172:173]
	v_add_f64 v[176:177], v[189:190], v[176:177]
	v_mul_f64 v[189:190], v[225:226], s[26:27]
	v_add_f64 v[172:173], v[172:173], v[186:187]
	v_add_f64 v[176:177], v[199:200], v[176:177]
	v_fma_f64 v[197:198], v[227:228], s[16:17], v[189:190]
	v_fma_f64 v[199:200], v[231:232], s[18:19], v[170:171]
	v_fma_f64 v[170:171], v[231:232], s[18:19], -v[170:171]
	v_add_f64 v[168:169], v[168:169], v[172:173]
	v_add_f64 v[197:198], v[197:198], v[205:206]
	v_add_f64 v[66:67], v[80:81], v[168:169]
	v_add_f64 v[197:198], v[199:200], v[197:198]
	v_fma_f64 v[199:200], v[235:236], s[14:15], -v[100:101]
	v_fma_f64 v[100:101], v[237:238], s[0:1], -v[154:155]
	v_add_f64 v[176:177], v[199:200], v[176:177]
	v_fma_f64 v[199:200], v[237:238], s[14:15], v[102:103]
	v_add_f64 v[78:79], v[100:101], v[78:79]
	v_fma_f64 v[100:101], v[245:246], s[14:15], -v[184:185]
	v_add_f64 v[102:103], v[70:71], v[62:63]
	v_add_f64 v[70:71], v[72:73], v[68:69]
	;; [unrolled: 1-line block ×3, first 2 shown]
	v_mul_f64 v[199:200], v[52:53], s[20:21]
	v_add_f64 v[68:69], v[74:75], v[102:103]
	v_fma_f64 v[52:53], v[241:242], s[12:13], -v[199:200]
	v_fma_f64 v[80:81], v[241:242], s[12:13], v[199:200]
	v_add_f64 v[54:55], v[52:53], v[176:177]
	v_fma_f64 v[176:177], v[227:228], s[16:17], -v[189:190]
	v_fma_f64 v[52:53], v[245:246], s[12:13], v[201:202]
	v_add_f64 v[62:63], v[80:81], v[66:67]
	v_add_f64 v[66:67], v[82:83], v[76:77]
	v_mul_u32_u24_e32 v76, 44, v196
	v_or_b32_e32 v72, v76, v195
	v_lshlrev_b32_e32 v72, 4, v72
	v_add_f64 v[176:177], v[176:177], v[213:214]
	v_add_f64 v[52:53], v[52:53], v[197:198]
	v_add_f64 v[170:171], v[170:171], v[176:177]
	v_add_f64 v[64:65], v[64:65], v[170:171]
	v_add_f64 v[60:61], v[60:61], v[64:65]
	v_add_f64 v[64:65], v[100:101], v[78:79]
	ds_write_b128 v72, v[44:47]
	ds_write_b128 v72, v[48:51] offset:64
	ds_write_b128 v72, v[56:59] offset:128
	;; [unrolled: 1-line block ×10, first 2 shown]
.LBB0_9:
	s_or_b32 exec_lo, exec_lo, s30
	s_waitcnt lgkmcnt(0)
	s_barrier
	buffer_gl0_inv
	ds_read_b128 v[40:43], v193 offset:3520
	ds_read_b128 v[44:47], v193 offset:7040
	;; [unrolled: 1-line block ×8, first 2 shown]
	s_mov_b32 s4, 0x134454ff
	s_mov_b32 s5, 0xbfee6f0e
	;; [unrolled: 1-line block ×10, first 2 shown]
	s_waitcnt lgkmcnt(7)
	v_mul_f64 v[72:73], v[98:99], v[42:43]
	s_waitcnt lgkmcnt(6)
	v_mul_f64 v[76:77], v[94:95], v[46:47]
	v_mul_f64 v[78:79], v[94:95], v[44:45]
	s_waitcnt lgkmcnt(5)
	v_mul_f64 v[80:81], v[90:91], v[50:51]
	s_waitcnt lgkmcnt(4)
	v_mul_f64 v[82:83], v[86:87], v[52:53]
	v_mul_f64 v[90:91], v[90:91], v[48:49]
	;; [unrolled: 1-line block ×4, first 2 shown]
	s_waitcnt lgkmcnt(3)
	v_mul_f64 v[94:95], v[114:115], v[58:59]
	v_mul_f64 v[98:99], v[114:115], v[56:57]
	s_waitcnt lgkmcnt(2)
	v_mul_f64 v[100:101], v[110:111], v[62:63]
	v_mul_f64 v[102:103], v[110:111], v[60:61]
	;; [unrolled: 3-line block ×4, first 2 shown]
	v_fma_f64 v[72:73], v[96:97], v[40:41], v[72:73]
	v_fma_f64 v[76:77], v[92:93], v[44:45], v[76:77]
	v_fma_f64 v[78:79], v[92:93], v[46:47], -v[78:79]
	v_fma_f64 v[48:49], v[88:89], v[48:49], v[80:81]
	v_fma_f64 v[54:55], v[84:85], v[54:55], -v[82:83]
	v_fma_f64 v[50:51], v[88:89], v[50:51], -v[90:91]
	v_fma_f64 v[52:53], v[84:85], v[52:53], v[86:87]
	v_fma_f64 v[74:75], v[96:97], v[42:43], -v[74:75]
	v_fma_f64 v[56:57], v[112:113], v[56:57], v[94:95]
	;; [unrolled: 2-line block ×5, first 2 shown]
	v_fma_f64 v[70:71], v[116:117], v[70:71], -v[118:119]
	ds_read_b128 v[40:43], v193
	ds_read_b128 v[44:47], v193 offset:1760
	s_waitcnt lgkmcnt(0)
	s_barrier
	buffer_gl0_inv
	v_add_f64 v[88:89], v[72:73], -v[76:77]
	v_add_f64 v[94:95], v[76:77], -v[72:73]
	v_add_f64 v[82:83], v[76:77], v[48:49]
	v_add_f64 v[102:103], v[76:77], -v[48:49]
	v_add_f64 v[100:101], v[78:79], v[50:51]
	v_add_f64 v[92:93], v[72:73], v[52:53]
	;; [unrolled: 1-line block ×3, first 2 shown]
	v_add_f64 v[90:91], v[52:53], -v[48:49]
	v_add_f64 v[84:85], v[74:75], -v[54:55]
	;; [unrolled: 1-line block ×4, first 2 shown]
	v_add_f64 v[114:115], v[60:61], v[64:65]
	v_add_f64 v[152:153], v[62:63], v[66:67]
	;; [unrolled: 1-line block ×6, first 2 shown]
	v_add_f64 v[72:73], v[72:73], -v[52:53]
	v_add_f64 v[108:109], v[74:75], -v[78:79]
	;; [unrolled: 1-line block ×5, first 2 shown]
	v_add_f64 v[120:121], v[44:45], v[56:57]
	v_add_f64 v[166:167], v[46:47], v[58:59]
	v_fma_f64 v[82:83], v[82:83], -0.5, v[40:41]
	v_add_f64 v[122:123], v[58:59], -v[70:71]
	v_fma_f64 v[100:101], v[100:101], -0.5, v[42:43]
	v_fma_f64 v[40:41], v[92:93], -0.5, v[40:41]
	;; [unrolled: 1-line block ×3, first 2 shown]
	v_add_f64 v[158:159], v[56:57], -v[60:61]
	v_add_f64 v[162:163], v[60:61], -v[56:57]
	;; [unrolled: 1-line block ×4, first 2 shown]
	v_fma_f64 v[114:115], v[114:115], -0.5, v[44:45]
	v_add_f64 v[160:161], v[68:69], -v[64:65]
	v_add_f64 v[76:77], v[80:81], v[76:77]
	v_add_f64 v[80:81], v[88:89], v[90:91]
	v_fma_f64 v[88:89], v[152:153], -0.5, v[46:47]
	v_add_f64 v[92:93], v[60:61], -v[64:65]
	v_fma_f64 v[44:45], v[118:119], -0.5, v[44:45]
	v_fma_f64 v[46:47], v[154:155], -0.5, v[46:47]
	v_add_f64 v[78:79], v[98:99], v[78:79]
	v_add_f64 v[168:169], v[58:59], -v[62:63]
	v_add_f64 v[58:59], v[62:63], -v[58:59]
	v_add_f64 v[170:171], v[66:67], -v[70:71]
	v_add_f64 v[90:91], v[94:95], v[96:97]
	v_add_f64 v[94:95], v[108:109], v[112:113]
	v_fma_f64 v[98:99], v[84:85], s[4:5], v[82:83]
	v_fma_f64 v[82:83], v[84:85], s[12:13], v[82:83]
	;; [unrolled: 1-line block ×5, first 2 shown]
	v_add_f64 v[74:75], v[74:75], v[116:117]
	v_fma_f64 v[116:117], v[102:103], s[4:5], v[42:43]
	v_fma_f64 v[42:43], v[102:103], s[12:13], v[42:43]
	;; [unrolled: 1-line block ×3, first 2 shown]
	v_add_f64 v[60:61], v[120:121], v[60:61]
	v_add_f64 v[62:63], v[166:167], v[62:63]
	v_add_f64 v[110:111], v[70:71], -v[66:67]
	v_fma_f64 v[120:121], v[122:123], s[4:5], v[114:115]
	v_fma_f64 v[154:155], v[56:57], s[12:13], v[88:89]
	v_add_f64 v[164:165], v[64:65], -v[68:69]
	v_add_f64 v[96:97], v[158:159], v[160:161]
	v_fma_f64 v[152:153], v[156:157], s[12:13], v[44:45]
	v_fma_f64 v[158:159], v[92:93], s[4:5], v[46:47]
	;; [unrolled: 1-line block ×6, first 2 shown]
	v_add_f64 v[48:49], v[76:77], v[48:49]
	v_add_f64 v[50:51], v[78:79], v[50:51]
	;; [unrolled: 1-line block ×3, first 2 shown]
	v_fma_f64 v[58:59], v[86:87], s[0:1], v[98:99]
	v_fma_f64 v[76:77], v[86:87], s[6:7], v[82:83]
	;; [unrolled: 1-line block ×8, first 2 shown]
	v_add_f64 v[60:61], v[60:61], v[64:65]
	v_add_f64 v[62:63], v[62:63], v[66:67]
	;; [unrolled: 1-line block ×3, first 2 shown]
	v_fma_f64 v[64:65], v[156:157], s[0:1], v[120:121]
	v_fma_f64 v[66:67], v[92:93], s[6:7], v[154:155]
	v_add_f64 v[118:119], v[162:163], v[164:165]
	v_fma_f64 v[102:103], v[122:123], s[0:1], v[152:153]
	v_fma_f64 v[112:113], v[56:57], s[6:7], v[158:159]
	;; [unrolled: 1-line block ×6, first 2 shown]
	v_add_f64 v[40:41], v[48:49], v[52:53]
	v_add_f64 v[42:43], v[50:51], v[54:55]
	v_fma_f64 v[44:45], v[80:81], s[14:15], v[58:59]
	v_fma_f64 v[48:49], v[80:81], s[14:15], v[76:77]
	;; [unrolled: 1-line block ×8, first 2 shown]
	v_add_f64 v[60:61], v[60:61], v[68:69]
	v_add_f64 v[62:63], v[62:63], v[70:71]
	v_fma_f64 v[64:65], v[96:97], s[14:15], v[64:65]
	v_fma_f64 v[66:67], v[110:111], s[14:15], v[66:67]
	v_fma_f64 v[72:73], v[118:119], s[14:15], v[102:103]
	v_fma_f64 v[74:75], v[160:161], s[14:15], v[112:113]
	v_fma_f64 v[68:69], v[96:97], s[14:15], v[100:101]
	v_fma_f64 v[76:77], v[118:119], s[14:15], v[108:109]
	v_fma_f64 v[78:79], v[160:161], s[14:15], v[114:115]
	v_fma_f64 v[70:71], v[110:111], s[14:15], v[88:89]
	ds_write_b128 v192, v[40:43]
	ds_write_b128 v192, v[44:47] offset:704
	ds_write_b128 v192, v[52:55] offset:1408
	;; [unrolled: 1-line block ×4, first 2 shown]
	ds_write_b128 v191, v[60:63]
	ds_write_b128 v191, v[64:67] offset:704
	ds_write_b128 v191, v[72:75] offset:1408
	;; [unrolled: 1-line block ×4, first 2 shown]
	s_waitcnt lgkmcnt(0)
	s_barrier
	buffer_gl0_inv
	ds_read_b128 v[40:43], v193 offset:3520
	ds_read_b128 v[44:47], v193 offset:7040
	;; [unrolled: 1-line block ×8, first 2 shown]
	s_waitcnt lgkmcnt(7)
	v_mul_f64 v[72:73], v[106:107], v[42:43]
	s_waitcnt lgkmcnt(6)
	v_mul_f64 v[76:77], v[134:135], v[46:47]
	v_mul_f64 v[78:79], v[134:135], v[44:45]
	s_waitcnt lgkmcnt(5)
	v_mul_f64 v[80:81], v[130:131], v[50:51]
	v_mul_f64 v[84:85], v[130:131], v[48:49]
	s_waitcnt lgkmcnt(4)
	v_mul_f64 v[86:87], v[126:127], v[54:55]
	v_mul_f64 v[74:75], v[106:107], v[40:41]
	v_mul_f64 v[82:83], v[126:127], v[52:53]
	s_waitcnt lgkmcnt(2)
	v_mul_f64 v[92:93], v[150:151], v[62:63]
	v_mul_f64 v[94:95], v[150:151], v[60:61]
	s_waitcnt lgkmcnt(1)
	v_mul_f64 v[96:97], v[146:147], v[66:67]
	v_mul_f64 v[98:99], v[146:147], v[64:65]
	v_mul_f64 v[88:89], v[142:143], v[58:59]
	v_mul_f64 v[90:91], v[142:143], v[56:57]
	s_waitcnt lgkmcnt(0)
	v_mul_f64 v[100:101], v[138:139], v[70:71]
	v_mul_f64 v[102:103], v[138:139], v[68:69]
	v_fma_f64 v[72:73], v[104:105], v[40:41], v[72:73]
	v_fma_f64 v[76:77], v[132:133], v[44:45], v[76:77]
	v_fma_f64 v[78:79], v[132:133], v[46:47], -v[78:79]
	v_fma_f64 v[48:49], v[128:129], v[48:49], v[80:81]
	v_fma_f64 v[50:51], v[128:129], v[50:51], -v[84:85]
	;; [unrolled: 2-line block ×3, first 2 shown]
	v_fma_f64 v[54:55], v[124:125], v[54:55], -v[82:83]
	v_fma_f64 v[60:61], v[148:149], v[60:61], v[92:93]
	v_fma_f64 v[62:63], v[148:149], v[62:63], -v[94:95]
	v_fma_f64 v[64:65], v[144:145], v[64:65], v[96:97]
	;; [unrolled: 2-line block ×4, first 2 shown]
	v_fma_f64 v[70:71], v[136:137], v[70:71], -v[102:103]
	ds_read_b128 v[40:43], v193
	ds_read_b128 v[44:47], v193 offset:1760
	v_add_f64 v[88:89], v[72:73], -v[76:77]
	v_add_f64 v[94:95], v[76:77], -v[72:73]
	v_add_f64 v[82:83], v[76:77], v[48:49]
	v_add_f64 v[100:101], v[78:79], v[50:51]
	;; [unrolled: 1-line block ×3, first 2 shown]
	v_add_f64 v[90:91], v[52:53], -v[48:49]
	v_add_f64 v[106:107], v[74:75], v[54:55]
	v_add_f64 v[84:85], v[74:75], -v[54:55]
	v_add_f64 v[86:87], v[78:79], -v[50:51]
	v_add_f64 v[112:113], v[60:61], v[64:65]
	v_add_f64 v[120:121], v[62:63], v[66:67]
	v_add_f64 v[96:97], v[48:49], -v[52:53]
	v_add_f64 v[104:105], v[74:75], -v[78:79]
	s_waitcnt lgkmcnt(1)
	v_add_f64 v[80:81], v[40:41], v[72:73]
	v_add_f64 v[116:117], v[56:57], v[68:69]
	;; [unrolled: 1-line block ×4, first 2 shown]
	s_waitcnt lgkmcnt(0)
	v_add_f64 v[114:115], v[44:45], v[56:57]
	v_add_f64 v[134:135], v[46:47], v[58:59]
	v_add_f64 v[72:73], v[72:73], -v[52:53]
	v_add_f64 v[108:109], v[54:55], -v[50:51]
	;; [unrolled: 1-line block ×5, first 2 shown]
	v_fma_f64 v[82:83], v[82:83], -0.5, v[40:41]
	v_fma_f64 v[100:101], v[100:101], -0.5, v[42:43]
	;; [unrolled: 1-line block ×3, first 2 shown]
	v_add_f64 v[118:119], v[58:59], -v[70:71]
	v_fma_f64 v[42:43], v[106:107], -0.5, v[42:43]
	v_add_f64 v[126:127], v[56:57], -v[60:61]
	v_add_f64 v[130:131], v[60:61], -v[56:57]
	;; [unrolled: 1-line block ×3, first 2 shown]
	v_fma_f64 v[112:113], v[112:113], -0.5, v[44:45]
	v_add_f64 v[124:125], v[62:63], -v[66:67]
	v_add_f64 v[128:129], v[68:69], -v[64:65]
	v_add_f64 v[76:77], v[80:81], v[76:77]
	v_add_f64 v[80:81], v[88:89], v[90:91]
	v_fma_f64 v[88:89], v[120:121], -0.5, v[46:47]
	v_add_f64 v[92:93], v[60:61], -v[64:65]
	v_fma_f64 v[44:45], v[116:117], -0.5, v[44:45]
	v_fma_f64 v[46:47], v[122:123], -0.5, v[46:47]
	v_add_f64 v[78:79], v[98:99], v[78:79]
	v_add_f64 v[136:137], v[58:59], -v[62:63]
	v_add_f64 v[58:59], v[62:63], -v[58:59]
	v_add_f64 v[60:61], v[114:115], v[60:61]
	v_add_f64 v[62:63], v[134:135], v[62:63]
	v_add_f64 v[138:139], v[66:67], -v[70:71]
	v_add_f64 v[90:91], v[94:95], v[96:97]
	v_add_f64 v[94:95], v[104:105], v[108:109]
	v_fma_f64 v[98:99], v[84:85], s[4:5], v[82:83]
	v_fma_f64 v[82:83], v[84:85], s[12:13], v[82:83]
	;; [unrolled: 1-line block ×5, first 2 shown]
	v_add_f64 v[74:75], v[74:75], v[110:111]
	v_fma_f64 v[110:111], v[102:103], s[4:5], v[42:43]
	v_fma_f64 v[42:43], v[102:103], s[12:13], v[42:43]
	;; [unrolled: 1-line block ×3, first 2 shown]
	v_add_f64 v[106:107], v[70:71], -v[66:67]
	v_fma_f64 v[116:117], v[118:119], s[4:5], v[112:113]
	v_fma_f64 v[112:113], v[118:119], s[12:13], v[112:113]
	;; [unrolled: 1-line block ×3, first 2 shown]
	v_add_f64 v[132:133], v[64:65], -v[68:69]
	v_add_f64 v[96:97], v[126:127], v[128:129]
	v_fma_f64 v[120:121], v[124:125], s[12:13], v[44:45]
	v_fma_f64 v[126:127], v[92:93], s[4:5], v[46:47]
	;; [unrolled: 1-line block ×5, first 2 shown]
	v_add_f64 v[48:49], v[76:77], v[48:49]
	v_add_f64 v[50:51], v[78:79], v[50:51]
	;; [unrolled: 1-line block ×5, first 2 shown]
	v_fma_f64 v[58:59], v[86:87], s[0:1], v[98:99]
	v_fma_f64 v[76:77], v[86:87], s[6:7], v[82:83]
	;; [unrolled: 1-line block ×8, first 2 shown]
	v_add_f64 v[106:107], v[136:137], v[106:107]
	v_fma_f64 v[64:65], v[124:125], s[0:1], v[116:117]
	v_fma_f64 v[66:67], v[124:125], s[6:7], v[112:113]
	;; [unrolled: 1-line block ×3, first 2 shown]
	v_add_f64 v[114:115], v[130:131], v[132:133]
	v_fma_f64 v[100:101], v[118:119], s[0:1], v[120:121]
	v_fma_f64 v[108:109], v[56:57], s[6:7], v[126:127]
	;; [unrolled: 1-line block ×5, first 2 shown]
	v_add_f64 v[40:41], v[48:49], v[52:53]
	v_add_f64 v[42:43], v[50:51], v[54:55]
	;; [unrolled: 1-line block ×4, first 2 shown]
	v_fma_f64 v[44:45], v[80:81], s[14:15], v[58:59]
	v_fma_f64 v[48:49], v[80:81], s[14:15], v[76:77]
	;; [unrolled: 1-line block ×8, first 2 shown]
	s_mov_b32 s0, 0xdca01dca
	v_fma_f64 v[64:65], v[96:97], s[14:15], v[64:65]
	v_fma_f64 v[68:69], v[96:97], s[14:15], v[66:67]
	;; [unrolled: 1-line block ×3, first 2 shown]
	s_mov_b32 s1, 0x3f4dca01
	v_fma_f64 v[72:73], v[114:115], s[14:15], v[100:101]
	v_fma_f64 v[74:75], v[128:129], s[14:15], v[108:109]
	;; [unrolled: 1-line block ×5, first 2 shown]
	ds_write_b128 v193, v[40:43]
	ds_write_b128 v193, v[60:63] offset:1760
	ds_write_b128 v193, v[44:47] offset:3520
	;; [unrolled: 1-line block ×9, first 2 shown]
	s_waitcnt lgkmcnt(0)
	s_barrier
	buffer_gl0_inv
	ds_read_b128 v[40:43], v193
	ds_read_b128 v[44:47], v193 offset:8800
	v_mad_u64_u32 v[60:61], null, s10, v188, 0
	v_mad_u64_u32 v[62:63], null, s8, v194, 0
	ds_read_b128 v[48:51], v193 offset:1760
	ds_read_b128 v[52:55], v193 offset:7040
	s_mul_i32 s4, s9, 0x2260
	s_mul_hi_u32 s5, s8, 0x2260
	s_mul_i32 s6, s8, 0x2260
	v_mov_b32_e32 v56, v61
	s_add_i32 s5, s5, s4
	v_mov_b32_e32 v57, v63
	s_mul_i32 s7, s9, 0xffffe480
	s_mul_i32 s10, s8, 0xffffe480
	v_mad_u64_u32 v[58:59], null, s11, v188, v[56:57]
	s_waitcnt lgkmcnt(3)
	v_mul_f64 v[64:65], v[2:3], v[42:43]
	s_waitcnt lgkmcnt(2)
	v_mul_f64 v[66:67], v[38:39], v[46:47]
	v_mul_f64 v[38:39], v[38:39], v[44:45]
	;; [unrolled: 1-line block ×3, first 2 shown]
	v_mad_u64_u32 v[68:69], null, s9, v194, v[57:58]
	v_mov_b32_e32 v61, v58
	ds_read_b128 v[56:59], v193 offset:10560
	s_waitcnt lgkmcnt(1)
	v_mul_f64 v[80:81], v[30:31], v[54:55]
	v_mul_f64 v[30:31], v[30:31], v[52:53]
	s_mul_hi_u32 s9, s8, 0xffffe480
	v_lshlrev_b64 v[60:61], 4, v[60:61]
	v_mov_b32_e32 v63, v68
	v_mul_f64 v[68:69], v[6:7], v[50:51]
	v_mul_f64 v[6:7], v[6:7], v[48:49]
	s_sub_i32 s8, s9, s8
	s_add_i32 s8, s8, s7
	v_fma_f64 v[64:65], v[0:1], v[40:41], v[64:65]
	v_fma_f64 v[66:67], v[36:37], v[44:45], v[66:67]
	v_lshlrev_b64 v[44:45], 4, v[62:63]
	v_fma_f64 v[72:73], v[36:37], v[46:47], -v[38:39]
	v_add_co_u32 v46, vcc_lo, s2, v60
	v_fma_f64 v[70:71], v[0:1], v[42:43], -v[2:3]
	ds_read_b128 v[0:3], v193 offset:3520
	v_add_co_ci_u32_e32 v47, vcc_lo, s3, v61, vcc_lo
	s_waitcnt lgkmcnt(1)
	v_mul_f64 v[74:75], v[26:27], v[58:59]
	v_mul_f64 v[26:27], v[26:27], v[56:57]
	ds_read_b128 v[36:39], v193 offset:12320
	ds_read_b128 v[40:43], v193 offset:5280
	v_add_co_u32 v76, vcc_lo, v46, v44
	v_add_co_ci_u32_e32 v77, vcc_lo, v47, v45, vcc_lo
	ds_read_b128 v[44:47], v193 offset:14080
	ds_read_b128 v[60:63], v193 offset:15840
	v_fma_f64 v[68:69], v[4:5], v[48:49], v[68:69]
	v_fma_f64 v[78:79], v[4:5], v[50:51], -v[6:7]
	v_mul_f64 v[4:5], v[64:65], s[0:1]
	v_mul_f64 v[48:49], v[66:67], s[0:1]
	v_add_co_u32 v66, vcc_lo, v76, s6
	v_mul_f64 v[50:51], v[72:73], s[0:1]
	s_waitcnt lgkmcnt(4)
	v_mul_f64 v[64:65], v[10:11], v[2:3]
	v_mul_f64 v[6:7], v[70:71], s[0:1]
	;; [unrolled: 1-line block ×3, first 2 shown]
	v_add_co_ci_u32_e32 v67, vcc_lo, s5, v77, vcc_lo
	s_waitcnt lgkmcnt(3)
	v_mul_f64 v[70:71], v[22:23], v[38:39]
	v_mul_f64 v[72:73], v[22:23], v[36:37]
	v_fma_f64 v[26:27], v[24:25], v[58:59], -v[26:27]
	s_waitcnt lgkmcnt(2)
	v_mul_f64 v[58:59], v[14:15], v[42:43]
	v_mul_f64 v[14:15], v[14:15], v[40:41]
	v_fma_f64 v[56:57], v[24:25], v[56:57], v[74:75]
	s_waitcnt lgkmcnt(1)
	v_mul_f64 v[74:75], v[18:19], v[46:47]
	v_mul_f64 v[18:19], v[18:19], v[44:45]
	s_waitcnt lgkmcnt(0)
	v_mul_f64 v[82:83], v[34:35], v[62:63]
	v_mul_f64 v[34:35], v[34:35], v[60:61]
	global_store_dwordx4 v[76:77], v[4:7], off
	global_store_dwordx4 v[66:67], v[48:51], off
	v_fma_f64 v[4:5], v[8:9], v[0:1], v[64:65]
	v_fma_f64 v[6:7], v[8:9], v[2:3], -v[10:11]
	v_add_co_u32 v48, vcc_lo, v66, s10
	v_fma_f64 v[8:9], v[20:21], v[36:37], v[70:71]
	v_fma_f64 v[10:11], v[20:21], v[38:39], -v[72:73]
	v_fma_f64 v[20:21], v[12:13], v[40:41], v[58:59]
	v_fma_f64 v[14:15], v[12:13], v[42:43], -v[14:15]
	v_mul_f64 v[2:3], v[26:27], s[0:1]
	v_fma_f64 v[26:27], v[16:17], v[44:45], v[74:75]
	v_fma_f64 v[18:19], v[16:17], v[46:47], -v[18:19]
	v_fma_f64 v[36:37], v[28:29], v[52:53], v[80:81]
	v_fma_f64 v[28:29], v[28:29], v[54:55], -v[30:31]
	;; [unrolled: 2-line block ×3, first 2 shown]
	v_add_co_ci_u32_e32 v49, vcc_lo, s8, v67, vcc_lo
	v_mul_f64 v[22:23], v[68:69], s[0:1]
	v_mul_f64 v[24:25], v[78:79], s[0:1]
	v_add_co_u32 v34, vcc_lo, v48, s6
	v_add_co_ci_u32_e32 v35, vcc_lo, s5, v49, vcc_lo
	v_mul_f64 v[0:1], v[56:57], s[0:1]
	v_add_co_u32 v38, vcc_lo, v34, s10
	v_add_co_ci_u32_e32 v39, vcc_lo, s8, v35, vcc_lo
	v_mul_f64 v[4:5], v[4:5], s[0:1]
	v_add_co_u32 v40, vcc_lo, v38, s6
	v_mul_f64 v[6:7], v[6:7], s[0:1]
	v_mul_f64 v[8:9], v[8:9], s[0:1]
	;; [unrolled: 1-line block ×3, first 2 shown]
	v_add_co_ci_u32_e32 v41, vcc_lo, s5, v39, vcc_lo
	v_mul_f64 v[12:13], v[20:21], s[0:1]
	v_mul_f64 v[14:15], v[14:15], s[0:1]
	;; [unrolled: 1-line block ×8, first 2 shown]
	v_add_co_u32 v20, vcc_lo, v40, s10
	v_add_co_ci_u32_e32 v21, vcc_lo, s8, v41, vcc_lo
	global_store_dwordx4 v[48:49], v[22:25], off
	v_add_co_u32 v22, vcc_lo, v20, s6
	v_add_co_ci_u32_e32 v23, vcc_lo, s5, v21, vcc_lo
	global_store_dwordx4 v[34:35], v[0:3], off
	;; [unrolled: 3-line block ×4, first 2 shown]
	global_store_dwordx4 v[20:21], v[12:15], off
	global_store_dwordx4 v[22:23], v[16:19], off
	;; [unrolled: 1-line block ×4, first 2 shown]
.LBB0_10:
	s_endpgm
	.section	.rodata,"a",@progbits
	.p2align	6, 0x0
	.amdhsa_kernel bluestein_single_back_len1100_dim1_dp_op_CI_CI
		.amdhsa_group_segment_fixed_size 17600
		.amdhsa_private_segment_fixed_size 0
		.amdhsa_kernarg_size 104
		.amdhsa_user_sgpr_count 6
		.amdhsa_user_sgpr_private_segment_buffer 1
		.amdhsa_user_sgpr_dispatch_ptr 0
		.amdhsa_user_sgpr_queue_ptr 0
		.amdhsa_user_sgpr_kernarg_segment_ptr 1
		.amdhsa_user_sgpr_dispatch_id 0
		.amdhsa_user_sgpr_flat_scratch_init 0
		.amdhsa_user_sgpr_private_segment_size 0
		.amdhsa_wavefront_size32 1
		.amdhsa_uses_dynamic_stack 0
		.amdhsa_system_sgpr_private_segment_wavefront_offset 0
		.amdhsa_system_sgpr_workgroup_id_x 1
		.amdhsa_system_sgpr_workgroup_id_y 0
		.amdhsa_system_sgpr_workgroup_id_z 0
		.amdhsa_system_sgpr_workgroup_info 0
		.amdhsa_system_vgpr_workitem_id 0
		.amdhsa_next_free_vgpr 249
		.amdhsa_next_free_sgpr 42
		.amdhsa_reserve_vcc 1
		.amdhsa_reserve_flat_scratch 0
		.amdhsa_float_round_mode_32 0
		.amdhsa_float_round_mode_16_64 0
		.amdhsa_float_denorm_mode_32 3
		.amdhsa_float_denorm_mode_16_64 3
		.amdhsa_dx10_clamp 1
		.amdhsa_ieee_mode 1
		.amdhsa_fp16_overflow 0
		.amdhsa_workgroup_processor_mode 1
		.amdhsa_memory_ordered 1
		.amdhsa_forward_progress 0
		.amdhsa_shared_vgpr_count 0
		.amdhsa_exception_fp_ieee_invalid_op 0
		.amdhsa_exception_fp_denorm_src 0
		.amdhsa_exception_fp_ieee_div_zero 0
		.amdhsa_exception_fp_ieee_overflow 0
		.amdhsa_exception_fp_ieee_underflow 0
		.amdhsa_exception_fp_ieee_inexact 0
		.amdhsa_exception_int_div_zero 0
	.end_amdhsa_kernel
	.text
.Lfunc_end0:
	.size	bluestein_single_back_len1100_dim1_dp_op_CI_CI, .Lfunc_end0-bluestein_single_back_len1100_dim1_dp_op_CI_CI
                                        ; -- End function
	.section	.AMDGPU.csdata,"",@progbits
; Kernel info:
; codeLenInByte = 17284
; NumSgprs: 44
; NumVgprs: 249
; ScratchSize: 0
; MemoryBound: 0
; FloatMode: 240
; IeeeMode: 1
; LDSByteSize: 17600 bytes/workgroup (compile time only)
; SGPRBlocks: 5
; VGPRBlocks: 31
; NumSGPRsForWavesPerEU: 44
; NumVGPRsForWavesPerEU: 249
; Occupancy: 4
; WaveLimiterHint : 1
; COMPUTE_PGM_RSRC2:SCRATCH_EN: 0
; COMPUTE_PGM_RSRC2:USER_SGPR: 6
; COMPUTE_PGM_RSRC2:TRAP_HANDLER: 0
; COMPUTE_PGM_RSRC2:TGID_X_EN: 1
; COMPUTE_PGM_RSRC2:TGID_Y_EN: 0
; COMPUTE_PGM_RSRC2:TGID_Z_EN: 0
; COMPUTE_PGM_RSRC2:TIDIG_COMP_CNT: 0
	.text
	.p2alignl 6, 3214868480
	.fill 48, 4, 3214868480
	.type	__hip_cuid_655d81b33558b659,@object ; @__hip_cuid_655d81b33558b659
	.section	.bss,"aw",@nobits
	.globl	__hip_cuid_655d81b33558b659
__hip_cuid_655d81b33558b659:
	.byte	0                               ; 0x0
	.size	__hip_cuid_655d81b33558b659, 1

	.ident	"AMD clang version 19.0.0git (https://github.com/RadeonOpenCompute/llvm-project roc-6.4.0 25133 c7fe45cf4b819c5991fe208aaa96edf142730f1d)"
	.section	".note.GNU-stack","",@progbits
	.addrsig
	.addrsig_sym __hip_cuid_655d81b33558b659
	.amdgpu_metadata
---
amdhsa.kernels:
  - .args:
      - .actual_access:  read_only
        .address_space:  global
        .offset:         0
        .size:           8
        .value_kind:     global_buffer
      - .actual_access:  read_only
        .address_space:  global
        .offset:         8
        .size:           8
        .value_kind:     global_buffer
      - .actual_access:  read_only
        .address_space:  global
        .offset:         16
        .size:           8
        .value_kind:     global_buffer
      - .actual_access:  read_only
        .address_space:  global
        .offset:         24
        .size:           8
        .value_kind:     global_buffer
      - .actual_access:  read_only
        .address_space:  global
        .offset:         32
        .size:           8
        .value_kind:     global_buffer
      - .offset:         40
        .size:           8
        .value_kind:     by_value
      - .address_space:  global
        .offset:         48
        .size:           8
        .value_kind:     global_buffer
      - .address_space:  global
        .offset:         56
        .size:           8
        .value_kind:     global_buffer
      - .address_space:  global
        .offset:         64
        .size:           8
        .value_kind:     global_buffer
      - .address_space:  global
        .offset:         72
        .size:           8
        .value_kind:     global_buffer
      - .offset:         80
        .size:           4
        .value_kind:     by_value
      - .address_space:  global
        .offset:         88
        .size:           8
        .value_kind:     global_buffer
      - .address_space:  global
        .offset:         96
        .size:           8
        .value_kind:     global_buffer
    .group_segment_fixed_size: 17600
    .kernarg_segment_align: 8
    .kernarg_segment_size: 104
    .language:       OpenCL C
    .language_version:
      - 2
      - 0
    .max_flat_workgroup_size: 110
    .name:           bluestein_single_back_len1100_dim1_dp_op_CI_CI
    .private_segment_fixed_size: 0
    .sgpr_count:     44
    .sgpr_spill_count: 0
    .symbol:         bluestein_single_back_len1100_dim1_dp_op_CI_CI.kd
    .uniform_work_group_size: 1
    .uses_dynamic_stack: false
    .vgpr_count:     249
    .vgpr_spill_count: 0
    .wavefront_size: 32
    .workgroup_processor_mode: 1
amdhsa.target:   amdgcn-amd-amdhsa--gfx1030
amdhsa.version:
  - 1
  - 2
...

	.end_amdgpu_metadata
